;; amdgpu-corpus repo=triton-lang/triton kind=triton arch=gfx1201 opt=O3 lang=triton
	.amdgcn_target "amdgcn-amd-amdhsa--gfx1201"
	.amdhsa_code_object_version 5
	.text
	.globl	matmul_kernel                   ; -- Begin function matmul_kernel
	.p2align	8
	.type	matmul_kernel,@function
matmul_kernel:                          ; @matmul_kernel
.Lfunc_begin0:
	.file	1 "/root/src/amdgpu-assembly/repos/triton-lang__triton-aot" "matmul.py"
	.loc	1 7 0                           ; matmul.py:7:0
	.cfi_sections .debug_frame
	.cfi_startproc
; %bb.0:
	s_load_b128 s[8:11], s[0:1], 0x18
.Ltmp0:
	.loc	1 16 22 prologue_end            ; matmul.py:16:22
	s_abs_i32 s5, ttmp9
	.loc	1 31 20                         ; matmul.py:31:20
	s_bfe_u32 s12, ttmp8, 0x50019
	.loc	1 22 51                         ; matmul.py:22:51
	v_and_b32_e32 v7, 31, v0
	v_and_b32_e32 v81, 15, v0
	s_delay_alu instid0(VALU_DEP_2) | instskip(NEXT) | instid1(VALU_DEP_1)
	v_lshl_or_b32 v82, s12, 5, v7
	v_lshrrev_b32_e32 v2, 4, v82
.Ltmp1:
	.file	2 "/root/.local/lib/python3.13/site-packages/triton/language" "standard.py"
	.loc	2 43 17                         ; standard.py:43:17 @[ matmul.py:14:27 ]
	s_wait_kmcnt 0x0
	s_add_co_i32 s2, s9, 31
.Ltmp2:
	.loc	2 43 17 is_stmt 0               ; standard.py:43:17 @[ matmul.py:13:27 ]
	s_add_co_i32 s6, s8, 31
.Ltmp3:
	.loc	2 43 30                         ; standard.py:43:30 @[ matmul.py:14:27 ]
	s_ashr_i32 s3, s2, 31
.Ltmp4:
	.loc	2 43 30                         ; standard.py:43:30 @[ matmul.py:13:27 ]
	s_ashr_i32 s13, s6, 31
.Ltmp5:
	.loc	2 43 30                         ; standard.py:43:30 @[ matmul.py:14:27 ]
	s_lshr_b32 s3, s3, 27
.Ltmp6:
	.loc	2 43 30                         ; standard.py:43:30 @[ matmul.py:13:27 ]
	s_wait_alu depctr_sa_sdst(0)
	s_lshr_b32 s13, s13, 27
.Ltmp7:
	.loc	2 43 30                         ; standard.py:43:30 @[ matmul.py:14:27 ]
	s_add_co_i32 s2, s2, s3
.Ltmp8:
	.loc	2 43 30                         ; standard.py:43:30 @[ matmul.py:13:27 ]
	s_wait_alu depctr_sa_sdst(0)
	s_add_co_i32 s6, s6, s13
.Ltmp9:
	.loc	2 43 30                         ; standard.py:43:30 @[ matmul.py:14:27 ]
	s_ashr_i32 s2, s2, 5
.Ltmp10:
	.loc	2 43 30                         ; standard.py:43:30 @[ matmul.py:13:27 ]
	s_ashr_i32 s6, s6, 5
.Ltmp11:
	.loc	1 16 22 is_stmt 1               ; matmul.py:16:22
	s_abs_i32 s3, s2
	s_delay_alu instid0(SALU_CYCLE_1) | instskip(SKIP_1) | instid1(SALU_CYCLE_2)
	s_cvt_f32_u32 s4, s3
	s_sub_co_i32 s7, 0, s3
	v_rcp_iflag_f32_e32 v1, s4
	s_delay_alu instid0(TRANS32_DEP_1) | instskip(SKIP_2) | instid1(SALU_CYCLE_2)
	v_readfirstlane_b32 s4, v1
	s_mul_f32 s4, s4, 0x4f7ffffe
	s_wait_alu depctr_sa_sdst(0)
	s_cvt_u32_f32 s4, s4
	s_wait_alu depctr_sa_sdst(0)
	s_delay_alu instid0(SALU_CYCLE_2) | instskip(NEXT) | instid1(SALU_CYCLE_1)
	s_mul_i32 s7, s7, s4
	s_mul_hi_u32 s7, s4, s7
	s_delay_alu instid0(SALU_CYCLE_1)
	s_add_co_i32 s4, s4, s7
	s_xor_b32 s7, ttmp9, s2
	s_wait_alu depctr_sa_sdst(0)
	s_mul_hi_u32 s4, s5, s4
	s_ashr_i32 s7, s7, 31
	s_wait_alu depctr_sa_sdst(0)
	s_mul_i32 s13, s4, s3
	s_wait_alu depctr_sa_sdst(0)
	s_sub_co_i32 s5, s5, s13
	s_add_co_i32 s13, s4, 1
	s_wait_alu depctr_sa_sdst(0)
	s_sub_co_i32 s14, s5, s3
	s_cmp_ge_u32 s5, s3
	s_cselect_b32 s4, s13, s4
	s_cselect_b32 s5, s14, s5
	s_wait_alu depctr_sa_sdst(0)
	s_add_co_i32 s13, s4, 1
	s_cmp_ge_u32 s5, s3
	s_wait_alu depctr_sa_sdst(0)
	s_cselect_b32 s3, s13, s4
	s_delay_alu instid0(SALU_CYCLE_1) | instskip(NEXT) | instid1(SALU_CYCLE_1)
	s_xor_b32 s3, s3, s7
	s_sub_co_i32 s3, s3, s7
	s_delay_alu instid0(SALU_CYCLE_1)
	.loc	1 18 35                         ; matmul.py:18:35
	s_sub_co_i32 s4, s6, s3
	.loc	1 19 34                         ; matmul.py:19:34
	s_mul_i32 s2, s3, s2
	.loc	1 18 48                         ; matmul.py:18:48
	s_wait_alu depctr_sa_sdst(0)
	s_min_i32 s4, s4, 1
	.loc	1 19 34                         ; matmul.py:19:34
	s_sub_co_i32 s2, ttmp9, s2
	.loc	1 20 40                         ; matmul.py:20:40
	s_wait_alu depctr_sa_sdst(0)
	s_abs_i32 s5, s4
	s_abs_i32 s13, s2
	s_wait_alu depctr_sa_sdst(0)
	s_cvt_f32_u32 s6, s5
	s_sub_co_i32 s7, 0, s5
	s_delay_alu instid0(SALU_CYCLE_2) | instskip(NEXT) | instid1(TRANS32_DEP_1)
	v_rcp_iflag_f32_e32 v1, s6
	v_readfirstlane_b32 s6, v1
	s_mul_f32 s6, s6, 0x4f7ffffe
	s_wait_alu depctr_sa_sdst(0)
	s_delay_alu instid0(SALU_CYCLE_2) | instskip(SKIP_1) | instid1(SALU_CYCLE_2)
	s_cvt_u32_f32 s6, s6
	s_wait_alu depctr_sa_sdst(0)
	s_mul_i32 s7, s7, s6
	s_wait_alu depctr_sa_sdst(0)
	s_mul_hi_u32 s7, s6, s7
	s_wait_alu depctr_sa_sdst(0)
	s_add_co_i32 s6, s6, s7
	s_xor_b32 s7, s2, s4
	s_wait_alu depctr_sa_sdst(0)
	s_mul_hi_u32 s6, s13, s6
	s_ashr_i32 s7, s7, 31
	s_wait_alu depctr_sa_sdst(0)
	s_mul_i32 s14, s6, s5
	s_delay_alu instid0(SALU_CYCLE_1)
	s_sub_co_i32 s13, s13, s14
	s_add_co_i32 s14, s6, 1
	s_wait_alu depctr_sa_sdst(0)
	s_sub_co_i32 s15, s13, s5
	s_cmp_ge_u32 s13, s5
	s_cselect_b32 s6, s14, s6
	s_cselect_b32 s13, s15, s13
	s_wait_alu depctr_sa_sdst(0)
	s_add_co_i32 s14, s6, 1
	s_cmp_ge_u32 s13, s5
	s_cselect_b32 s5, s14, s6
	.loc	1 22 68                         ; matmul.py:22:68
	s_abs_i32 s13, s8
	.loc	1 20 40                         ; matmul.py:20:40
	s_wait_alu depctr_sa_sdst(0)
	s_xor_b32 s5, s5, s7
	.loc	1 22 68                         ; matmul.py:22:68
	s_cvt_f32_u32 s6, s13
	.loc	1 20 40                         ; matmul.py:20:40
	s_wait_alu depctr_sa_sdst(0)
	s_sub_co_i32 s7, s5, s7
	.loc	1 23 68                         ; matmul.py:23:68
	s_abs_i32 s16, s9
	.loc	1 19 54                         ; matmul.py:19:54
	s_wait_alu depctr_sa_sdst(0)
	s_mul_i32 s4, s7, s4
	.loc	1 22 68                         ; matmul.py:22:68
	v_rcp_iflag_f32_e32 v1, s6
	.loc	1 19 54                         ; matmul.py:19:54
	s_wait_alu depctr_sa_sdst(0)
	s_sub_co_i32 s2, s2, s4
.Ltmp12:
	.loc	2 43 17                         ; standard.py:43:17 @[ matmul.py:29:33 ]
	s_add_co_i32 s25, s10, 15
.Ltmp13:
	.loc	1 19 27                         ; matmul.py:19:27
	s_add_co_i32 s2, s2, s3
	s_load_b64 s[4:5], s[0:1], 0x0
	.loc	1 22 23                         ; matmul.py:22:23
	s_lshl_b32 s18, s2, 5
	.loc	1 22 68 is_stmt 0               ; matmul.py:22:68
	s_bfe_i32 s14, s2, 0x1001a
	s_sub_co_i32 s2, 0, s13
	s_delay_alu instid0(TRANS32_DEP_1) | instskip(SKIP_2) | instid1(VALU_DEP_1)
	v_readfirstlane_b32 s3, v1
	.loc	1 22 38                         ; matmul.py:22:38
	v_and_or_b32 v1, v2, 3, s18
	.loc	1 22 68                         ; matmul.py:22:68
	s_mul_f32 s3, s3, 0x4f7ffffe
	v_add_nc_u32_e32 v8, s14, v1
	s_delay_alu instid0(SALU_CYCLE_2) | instskip(SKIP_1) | instid1(VALU_DEP_1)
	s_cvt_u32_f32 s6, s3
	s_load_b32 s3, s[0:1], 0x28
	v_xor_b32_e32 v1, s14, v8
	s_delay_alu instid0(SALU_CYCLE_1) | instskip(NEXT) | instid1(SALU_CYCLE_1)
	s_mul_i32 s2, s2, s6
	s_mul_hi_u32 s2, s6, s2
	s_delay_alu instid0(SALU_CYCLE_1)
	s_add_co_i32 s6, s6, s2
	.loc	1 23 68 is_stmt 1               ; matmul.py:23:68
	s_cvt_f32_u32 s2, s16
	.loc	1 22 68                         ; matmul.py:22:68
	s_wait_alu depctr_sa_sdst(0)
	v_mul_hi_u32 v2, v1, s6
	.loc	1 29 22                         ; matmul.py:29:22
	s_cmp_gt_i32 s25, 15
	.loc	1 23 68                         ; matmul.py:23:68
	v_rcp_iflag_f32_e32 v3, s2
	.loc	1 29 22                         ; matmul.py:29:22
	s_cselect_b32 s20, -1, 0
	s_delay_alu instid0(VALU_DEP_1) | instskip(NEXT) | instid1(TRANS32_DEP_1)
	.loc	1 22 68                         ; matmul.py:22:68
	v_mul_lo_u32 v2, v2, s13
	.loc	1 23 68                         ; matmul.py:23:68
	v_readfirstlane_b32 s2, v3
	s_delay_alu instid0(VALU_DEP_2) | instskip(SKIP_1) | instid1(VALU_DEP_1)
	.loc	1 22 68                         ; matmul.py:22:68
	v_sub_nc_u32_e32 v1, v1, v2
	.loc	1 23 68                         ; matmul.py:23:68
	s_mul_f32 s15, s2, 0x4f7ffffe
	.loc	1 22 68                         ; matmul.py:22:68
	v_subrev_nc_u32_e32 v2, s13, v1
	v_cmp_le_u32_e32 vcc_lo, s13, v1
	s_delay_alu instid0(VALU_DEP_2) | instskip(SKIP_3) | instid1(VALU_DEP_4)
	v_cndmask_b32_e32 v1, v1, v2, vcc_lo
	v_add_nc_u32_e32 v3, 4, v8
	v_dual_mov_b32 v85, 0 :: v_dual_add_nc_u32 v4, 12, v8
	v_add_nc_u32_e32 v9, 16, v8
	v_subrev_nc_u32_e32 v2, s13, v1
	v_cmp_le_u32_e32 vcc_lo, s13, v1
	v_xor_b32_e32 v14, s14, v3
	v_xor_b32_e32 v13, s14, v4
	v_add_nc_u32_e32 v12, 20, v8
	v_xor_b32_e32 v11, s14, v9
	s_wait_alu depctr_va_vcc(0)
	v_cndmask_b32_e32 v1, v1, v2, vcc_lo
	v_mad_co_u64_u32 v[3:4], null, v14, s6, 0
	.loc	1 30 51                         ; matmul.py:30:51
	v_cmp_gt_i32_e32 vcc_lo, s10, v81
	v_mov_b32_e32 v9, 0
	s_delay_alu instid0(VALU_DEP_4) | instskip(SKIP_2) | instid1(VALU_DEP_2)
	.loc	1 22 68                         ; matmul.py:22:68
	v_xor_b32_e32 v2, s14, v1
	.loc	1 25 71                         ; matmul.py:25:71
	s_wait_kmcnt 0x0
	v_mul_lo_u32 v1, s3, v81
	.loc	1 22 68                         ; matmul.py:22:68
	v_subrev_nc_u32_e32 v2, s14, v2
	s_delay_alu instid0(VALU_DEP_1) | instskip(SKIP_1) | instid1(VALU_DEP_1)
	.loc	1 25 53                         ; matmul.py:25:53
	v_mad_co_u64_u32 v[5:6], null, v2, s11, v[1:2]
	.loc	1 22 68                         ; matmul.py:22:68
	v_add_nc_u32_e32 v2, 8, v8
	v_xor_b32_e32 v10, s14, v2
	s_delay_alu instid0(VALU_DEP_3) | instskip(SKIP_1) | instid1(VALU_DEP_2)
	.loc	1 25 22                         ; matmul.py:25:22
	v_ashrrev_i32_e32 v6, 31, v5
	.loc	1 22 68                         ; matmul.py:22:68
	v_mad_co_u64_u32 v[2:3], null, v13, s6, 0
	.loc	1 25 22                         ; matmul.py:25:22
	v_lshlrev_b64_e32 v[25:26], 1, v[5:6]
	s_delay_alu instid0(VALU_DEP_4) | instskip(NEXT) | instid1(VALU_DEP_2)
	.loc	1 22 68                         ; matmul.py:22:68
	v_mad_co_u64_u32 v[5:6], null, v10, s6, 0
	.loc	1 25 22                         ; matmul.py:25:22
	v_add_co_u32 v17, s2, s4, v25
	s_wait_alu depctr_va_sdst(0)
	s_delay_alu instid0(VALU_DEP_3)
	v_add_co_ci_u32_e64 v18, null, s5, v26, s2
	.loc	1 29 22                         ; matmul.py:29:22
	s_and_b32 s2, vcc_lo, s20
	.loc	1 30 20                         ; matmul.py:30:20
	s_wait_alu depctr_sa_sdst(0)
	s_and_saveexec_b32 s17, s2
	s_cbranch_execz .LBB0_2
; %bb.1:
	global_load_u16 v9, v[17:18], off
.LBB0_2:
	.loc	1 0 20 is_stmt 0                ; matmul.py:0:20
	s_or_b32 exec_lo, exec_lo, s17
	.loc	1 22 68 is_stmt 1               ; matmul.py:22:68
	v_mul_lo_u32 v2, v4, s13
	.loc	1 0 0 is_stmt 0                 ; matmul.py:0
	v_xor_b32_e32 v12, s14, v12
	s_cvt_u32_f32 s15, s15
	s_lshl_b32 s19, s7, 5
	s_sub_co_i32 s21, 0, s16
	s_delay_alu instid0(VALU_DEP_2) | instskip(SKIP_1) | instid1(VALU_DEP_2)
	.loc	1 22 68                         ; matmul.py:22:68
	v_sub_nc_u32_e32 v2, v14, v2
	.loc	1 0 0                           ; matmul.py:0
	v_add_nc_u32_e32 v14, 24, v8
	.loc	1 22 68                         ; matmul.py:22:68
	v_subrev_nc_u32_e32 v4, s13, v2
	v_cmp_le_u32_e32 vcc_lo, s13, v2
	s_wait_alu depctr_va_vcc(0)
	s_delay_alu instid0(VALU_DEP_2) | instskip(NEXT) | instid1(VALU_DEP_1)
	v_cndmask_b32_e32 v2, v2, v4, vcc_lo
	v_subrev_nc_u32_e32 v4, s13, v2
	v_cmp_le_u32_e32 vcc_lo, s13, v2
	s_wait_alu depctr_va_vcc(0)
	s_delay_alu instid0(VALU_DEP_2) | instskip(NEXT) | instid1(VALU_DEP_1)
	v_cndmask_b32_e32 v2, v2, v4, vcc_lo
	v_xor_b32_e32 v2, s14, v2
	s_delay_alu instid0(VALU_DEP_1) | instskip(NEXT) | instid1(VALU_DEP_1)
	v_subrev_nc_u32_e32 v2, s14, v2
	.loc	1 25 53 is_stmt 1               ; matmul.py:25:53
	v_mad_co_u64_u32 v[4:5], null, v2, s11, v[1:2]
	s_delay_alu instid0(VALU_DEP_1) | instskip(NEXT) | instid1(VALU_DEP_1)
	.loc	1 25 22 is_stmt 0               ; matmul.py:25:22
	v_ashrrev_i32_e32 v5, 31, v4
	v_lshlrev_b64_e32 v[27:28], 1, v[4:5]
	.loc	1 0 0                           ; matmul.py:0
	v_mad_co_u64_u32 v[4:5], null, v11, s6, 0
	s_delay_alu instid0(VALU_DEP_2) | instskip(SKIP_1) | instid1(VALU_DEP_3)
	.loc	1 25 22                         ; matmul.py:25:22
	v_add_co_u32 v19, vcc_lo, s4, v27
	s_wait_alu depctr_va_vcc(0)
	v_add_co_ci_u32_e64 v20, null, s5, v28, vcc_lo
	.loc	1 30 20 is_stmt 1               ; matmul.py:30:20
	s_and_saveexec_b32 s17, s2
	s_cbranch_execz .LBB0_4
; %bb.3:
	global_load_u16 v85, v[19:20], off
.LBB0_4:
	.loc	1 0 20 is_stmt 0                ; matmul.py:0:20
	s_or_b32 exec_lo, exec_lo, s17
	.loc	1 22 68 is_stmt 1               ; matmul.py:22:68
	v_mul_lo_u32 v2, v6, s13
	v_mov_b32_e32 v86, 0
	.loc	1 0 0 is_stmt 0                 ; matmul.py:0
	s_bfe_i32 s17, s7, 0x1001a
	s_wait_alu depctr_sa_sdst(0)
	s_mul_i32 s21, s21, s15
	s_delay_alu instid0(VALU_DEP_2) | instskip(SKIP_1) | instid1(VALU_DEP_2)
	.loc	1 22 68                         ; matmul.py:22:68
	v_sub_nc_u32_e32 v2, v10, v2
	v_mov_b32_e32 v10, 0
	v_subrev_nc_u32_e32 v4, s13, v2
	v_cmp_le_u32_e32 vcc_lo, s13, v2
	s_wait_alu depctr_va_vcc(0)
	s_delay_alu instid0(VALU_DEP_2) | instskip(NEXT) | instid1(VALU_DEP_1)
	v_cndmask_b32_e32 v2, v2, v4, vcc_lo
	v_subrev_nc_u32_e32 v4, s13, v2
	v_cmp_le_u32_e32 vcc_lo, s13, v2
	s_wait_alu depctr_va_vcc(0)
	s_delay_alu instid0(VALU_DEP_2) | instskip(SKIP_2) | instid1(VALU_DEP_3)
	v_cndmask_b32_e32 v2, v2, v4, vcc_lo
	.loc	1 0 0                           ; matmul.py:0
	v_or_b32_e32 v4, s19, v7
	v_mad_co_u64_u32 v[6:7], null, v12, s6, 0
	.loc	1 22 68                         ; matmul.py:22:68
	v_xor_b32_e32 v2, s14, v2
	s_delay_alu instid0(VALU_DEP_1) | instskip(NEXT) | instid1(VALU_DEP_1)
	v_subrev_nc_u32_e32 v2, s14, v2
	.loc	1 25 53 is_stmt 1               ; matmul.py:25:53
	v_mad_co_u64_u32 v[15:16], null, v2, s11, v[1:2]
	.loc	1 0 0 is_stmt 0                 ; matmul.py:0
	v_add_nc_u32_e32 v2, 28, v8
	v_xor_b32_e32 v8, s14, v14
	s_delay_alu instid0(VALU_DEP_3) | instskip(NEXT) | instid1(VALU_DEP_1)
	.loc	1 25 22                         ; matmul.py:25:22
	v_ashrrev_i32_e32 v16, 31, v15
	v_lshlrev_b64_e32 v[29:30], 1, v[15:16]
	s_delay_alu instid0(VALU_DEP_1) | instskip(SKIP_1) | instid1(VALU_DEP_2)
	v_add_co_u32 v21, vcc_lo, s4, v29
	s_wait_alu depctr_va_vcc(0)
	v_add_co_ci_u32_e64 v22, null, s5, v30, vcc_lo
	.loc	1 30 20 is_stmt 1               ; matmul.py:30:20
	s_and_saveexec_b32 s7, s2
	s_cbranch_execz .LBB0_6
; %bb.5:
	global_load_u16 v10, v[21:22], off
.LBB0_6:
	.loc	1 0 20 is_stmt 0                ; matmul.py:0:20
	s_wait_alu depctr_sa_sdst(0)
	s_or_b32 exec_lo, exec_lo, s7
	.loc	1 22 68 is_stmt 1               ; matmul.py:22:68
	v_mul_lo_u32 v3, v3, s13
	.loc	1 0 0 is_stmt 0                 ; matmul.py:0
	s_mul_hi_u32 s7, s15, s21
	v_add_nc_u32_e32 v4, s17, v4
	s_delay_alu instid0(VALU_DEP_2) | instskip(NEXT) | instid1(VALU_DEP_1)
	.loc	1 22 68                         ; matmul.py:22:68
	v_sub_nc_u32_e32 v3, v13, v3
	v_subrev_nc_u32_e32 v6, s13, v3
	v_cmp_le_u32_e32 vcc_lo, s13, v3
	s_wait_alu depctr_va_vcc(0)
	s_delay_alu instid0(VALU_DEP_2) | instskip(NEXT) | instid1(VALU_DEP_1)
	v_cndmask_b32_e32 v3, v3, v6, vcc_lo
	v_subrev_nc_u32_e32 v6, s13, v3
	v_cmp_le_u32_e32 vcc_lo, s13, v3
	s_wait_alu depctr_va_vcc(0)
	s_delay_alu instid0(VALU_DEP_2) | instskip(NEXT) | instid1(VALU_DEP_1)
	v_cndmask_b32_e32 v3, v3, v6, vcc_lo
	v_xor_b32_e32 v3, s14, v3
	s_delay_alu instid0(VALU_DEP_1) | instskip(NEXT) | instid1(VALU_DEP_1)
	v_subrev_nc_u32_e32 v3, s14, v3
	.loc	1 25 53 is_stmt 1               ; matmul.py:25:53
	v_mad_co_u64_u32 v[13:14], null, v3, s11, v[1:2]
	s_delay_alu instid0(VALU_DEP_1) | instskip(NEXT) | instid1(VALU_DEP_1)
	.loc	1 25 22 is_stmt 0               ; matmul.py:25:22
	v_ashrrev_i32_e32 v14, 31, v13
	v_lshlrev_b64_e32 v[31:32], 1, v[13:14]
	.loc	1 0 0                           ; matmul.py:0
	v_xor_b32_e32 v13, s14, v2
	v_mad_co_u64_u32 v[2:3], null, v8, s6, 0
	s_delay_alu instid0(VALU_DEP_3) | instskip(SKIP_1) | instid1(VALU_DEP_4)
	.loc	1 25 22                         ; matmul.py:25:22
	v_add_co_u32 v23, vcc_lo, s4, v31
	s_wait_alu depctr_va_vcc(0)
	v_add_co_ci_u32_e64 v24, null, s5, v32, vcc_lo
	.loc	1 30 20 is_stmt 1               ; matmul.py:30:20
	s_and_saveexec_b32 s21, s2
	s_cbranch_execz .LBB0_8
; %bb.7:
	global_load_u16 v86, v[23:24], off
.LBB0_8:
	.loc	1 0 20 is_stmt 0                ; matmul.py:0:20
	s_or_b32 exec_lo, exec_lo, s21
	.loc	1 22 68 is_stmt 1               ; matmul.py:22:68
	v_mul_lo_u32 v2, v5, s13
	.loc	1 0 0 is_stmt 0                 ; matmul.py:0
	s_wait_alu depctr_sa_sdst(0)
	s_add_co_i32 s15, s15, s7
	v_mov_b32_e32 v87, 0
	s_delay_alu instid0(VALU_DEP_2) | instskip(NEXT) | instid1(VALU_DEP_1)
	.loc	1 22 68                         ; matmul.py:22:68
	v_sub_nc_u32_e32 v2, v11, v2
	v_subrev_nc_u32_e32 v5, s13, v2
	v_cmp_le_u32_e32 vcc_lo, s13, v2
	s_wait_alu depctr_va_vcc(0)
	s_delay_alu instid0(VALU_DEP_2) | instskip(NEXT) | instid1(VALU_DEP_1)
	v_cndmask_b32_e32 v2, v2, v5, vcc_lo
	v_subrev_nc_u32_e32 v5, s13, v2
	v_cmp_le_u32_e32 vcc_lo, s13, v2
	s_wait_alu depctr_va_vcc(0)
	s_delay_alu instid0(VALU_DEP_2) | instskip(NEXT) | instid1(VALU_DEP_1)
	v_cndmask_b32_e32 v2, v2, v5, vcc_lo
	v_xor_b32_e32 v2, s14, v2
	s_delay_alu instid0(VALU_DEP_1) | instskip(NEXT) | instid1(VALU_DEP_1)
	v_subrev_nc_u32_e32 v2, s14, v2
	.loc	1 25 53 is_stmt 1               ; matmul.py:25:53
	v_mad_co_u64_u32 v[5:6], null, v2, s11, v[1:2]
	.loc	1 0 0 is_stmt 0                 ; matmul.py:0
	v_xor_b32_e32 v2, s17, v4
	s_delay_alu instid0(VALU_DEP_2) | instskip(NEXT) | instid1(VALU_DEP_1)
	.loc	1 25 22                         ; matmul.py:25:22
	v_ashrrev_i32_e32 v6, 31, v5
	v_lshlrev_b64_e32 v[33:34], 1, v[5:6]
	.loc	1 0 0                           ; matmul.py:0
	v_mad_co_u64_u32 v[4:5], null, v13, s6, 0
	v_mov_b32_e32 v4, 0
	s_delay_alu instid0(VALU_DEP_3) | instskip(SKIP_1) | instid1(VALU_DEP_4)
	.loc	1 25 22                         ; matmul.py:25:22
	v_add_co_u32 v57, vcc_lo, s4, v33
	s_wait_alu depctr_va_vcc(0)
	v_add_co_ci_u32_e64 v58, null, s5, v34, vcc_lo
	.loc	1 30 20 is_stmt 1               ; matmul.py:30:20
	s_and_saveexec_b32 s6, s2
	s_cbranch_execz .LBB0_10
; %bb.9:
	global_load_u16 v4, v[57:58], off
.LBB0_10:
	.loc	1 0 20 is_stmt 0                ; matmul.py:0:20
	s_wait_alu depctr_sa_sdst(0)
	s_or_b32 exec_lo, exec_lo, s6
	.loc	1 22 68 is_stmt 1               ; matmul.py:22:68
	v_mul_lo_u32 v6, v7, s13
	s_delay_alu instid0(VALU_DEP_1) | instskip(NEXT) | instid1(VALU_DEP_1)
	v_sub_nc_u32_e32 v6, v12, v6
	v_subrev_nc_u32_e32 v7, s13, v6
	v_cmp_le_u32_e32 vcc_lo, s13, v6
	s_wait_alu depctr_va_vcc(0)
	s_delay_alu instid0(VALU_DEP_2) | instskip(NEXT) | instid1(VALU_DEP_1)
	v_cndmask_b32_e32 v6, v6, v7, vcc_lo
	v_subrev_nc_u32_e32 v7, s13, v6
	v_cmp_le_u32_e32 vcc_lo, s13, v6
	s_wait_alu depctr_va_vcc(0)
	s_delay_alu instid0(VALU_DEP_2) | instskip(NEXT) | instid1(VALU_DEP_1)
	v_cndmask_b32_e32 v6, v6, v7, vcc_lo
	v_xor_b32_e32 v6, s14, v6
	s_delay_alu instid0(VALU_DEP_1) | instskip(NEXT) | instid1(VALU_DEP_1)
	v_subrev_nc_u32_e32 v6, s14, v6
	.loc	1 25 53                         ; matmul.py:25:53
	v_mad_co_u64_u32 v[6:7], null, v6, s11, v[1:2]
	s_delay_alu instid0(VALU_DEP_1) | instskip(NEXT) | instid1(VALU_DEP_1)
	.loc	1 25 22 is_stmt 0               ; matmul.py:25:22
	v_ashrrev_i32_e32 v7, 31, v6
	v_lshlrev_b64_e32 v[35:36], 1, v[6:7]
	.loc	1 0 0                           ; matmul.py:0
	v_mad_co_u64_u32 v[6:7], null, v2, s15, 0
	s_delay_alu instid0(VALU_DEP_2) | instskip(SKIP_1) | instid1(VALU_DEP_3)
	.loc	1 25 22                         ; matmul.py:25:22
	v_add_co_u32 v59, vcc_lo, s4, v35
	s_wait_alu depctr_va_vcc(0)
	v_add_co_ci_u32_e64 v60, null, s5, v36, vcc_lo
	.loc	1 30 20 is_stmt 1               ; matmul.py:30:20
	s_and_saveexec_b32 s6, s2
	s_cbranch_execz .LBB0_12
; %bb.11:
	global_load_u16 v87, v[59:60], off
.LBB0_12:
	.loc	1 0 20 is_stmt 0                ; matmul.py:0:20
	s_wait_alu depctr_sa_sdst(0)
	s_or_b32 exec_lo, exec_lo, s6
	.loc	1 22 68 is_stmt 1               ; matmul.py:22:68
	v_mul_lo_u32 v3, v3, s13
	s_load_b64 s[6:7], s[0:1], 0x8
	v_mov_b32_e32 v88, 0
	s_delay_alu instid0(VALU_DEP_2) | instskip(NEXT) | instid1(VALU_DEP_1)
	v_sub_nc_u32_e32 v3, v8, v3
	v_subrev_nc_u32_e32 v6, s13, v3
	v_cmp_le_u32_e32 vcc_lo, s13, v3
	s_wait_alu depctr_va_vcc(0)
	s_delay_alu instid0(VALU_DEP_2) | instskip(NEXT) | instid1(VALU_DEP_1)
	v_cndmask_b32_e32 v3, v3, v6, vcc_lo
	v_subrev_nc_u32_e32 v6, s13, v3
	v_cmp_le_u32_e32 vcc_lo, s13, v3
	s_wait_alu depctr_va_vcc(0)
	s_delay_alu instid0(VALU_DEP_2) | instskip(NEXT) | instid1(VALU_DEP_1)
	v_cndmask_b32_e32 v3, v3, v6, vcc_lo
	v_xor_b32_e32 v3, s14, v3
	s_delay_alu instid0(VALU_DEP_1) | instskip(NEXT) | instid1(VALU_DEP_1)
	v_subrev_nc_u32_e32 v3, s14, v3
	.loc	1 25 53                         ; matmul.py:25:53
	v_mad_co_u64_u32 v[11:12], null, v3, s11, v[1:2]
	v_mov_b32_e32 v3, 0
	s_delay_alu instid0(VALU_DEP_2) | instskip(NEXT) | instid1(VALU_DEP_1)
	.loc	1 25 22 is_stmt 0               ; matmul.py:25:22
	v_ashrrev_i32_e32 v12, 31, v11
	v_lshlrev_b64_e32 v[37:38], 1, v[11:12]
	s_delay_alu instid0(VALU_DEP_1) | instskip(SKIP_1) | instid1(VALU_DEP_2)
	v_add_co_u32 v61, vcc_lo, s4, v37
	s_wait_alu depctr_va_vcc(0)
	v_add_co_ci_u32_e64 v62, null, s5, v38, vcc_lo
	.loc	1 30 20 is_stmt 1               ; matmul.py:30:20
	s_and_saveexec_b32 s15, s2
	s_cbranch_execz .LBB0_14
; %bb.13:
	global_load_u16 v3, v[61:62], off
.LBB0_14:
	.loc	1 0 20 is_stmt 0                ; matmul.py:0:20
	s_wait_alu depctr_sa_sdst(0)
	s_or_b32 exec_lo, exec_lo, s15
	.loc	1 22 68 is_stmt 1               ; matmul.py:22:68
	v_mul_lo_u32 v5, v5, s13
	s_delay_alu instid0(VALU_DEP_1) | instskip(NEXT) | instid1(VALU_DEP_1)
	v_sub_nc_u32_e32 v5, v13, v5
	v_subrev_nc_u32_e32 v6, s13, v5
	v_cmp_le_u32_e32 vcc_lo, s13, v5
	s_wait_alu depctr_va_vcc(0)
	s_delay_alu instid0(VALU_DEP_2) | instskip(NEXT) | instid1(VALU_DEP_1)
	v_cndmask_b32_e32 v5, v5, v6, vcc_lo
	v_subrev_nc_u32_e32 v6, s13, v5
	v_cmp_le_u32_e32 vcc_lo, s13, v5
	s_wait_alu depctr_va_vcc(0)
	s_delay_alu instid0(VALU_DEP_2) | instskip(NEXT) | instid1(VALU_DEP_1)
	v_cndmask_b32_e32 v5, v5, v6, vcc_lo
	v_xor_b32_e32 v5, s14, v5
	s_delay_alu instid0(VALU_DEP_1) | instskip(SKIP_1) | instid1(VALU_DEP_1)
	v_subrev_nc_u32_e32 v5, s14, v5
	s_load_b64 s[14:15], s[0:1], 0x2c
	.loc	1 25 53                         ; matmul.py:25:53
	v_mad_co_u64_u32 v[5:6], null, v5, s11, v[1:2]
	s_delay_alu instid0(VALU_DEP_1) | instskip(NEXT) | instid1(VALU_DEP_1)
	.loc	1 25 22 is_stmt 0               ; matmul.py:25:22
	v_ashrrev_i32_e32 v6, 31, v5
	v_lshlrev_b64_e32 v[39:40], 1, v[5:6]
	s_delay_alu instid0(VALU_DEP_1) | instskip(SKIP_1) | instid1(VALU_DEP_2)
	v_add_co_u32 v63, vcc_lo, s4, v39
	s_wait_alu depctr_va_vcc(0)
	v_add_co_ci_u32_e64 v64, null, s5, v40, vcc_lo
	.loc	1 30 20 is_stmt 1               ; matmul.py:30:20
	s_and_saveexec_b32 s11, s2
	s_cbranch_execz .LBB0_16
; %bb.15:
	global_load_u16 v88, v[63:64], off
.LBB0_16:
	.loc	1 0 20 is_stmt 0                ; matmul.py:0:20
	s_wait_alu depctr_sa_sdst(0)
	s_or_b32 exec_lo, exec_lo, s11
	.loc	1 23 68 is_stmt 1               ; matmul.py:23:68
	v_mul_lo_u32 v1, v7, s16
	.loc	1 26 29                         ; matmul.py:26:29
	s_and_b32 s21, s12, 1
	v_mov_b32_e32 v5, 0
	.loc	1 26 40 is_stmt 0               ; matmul.py:26:40
	s_wait_kmcnt 0x0
	s_mul_i32 s2, s14, s21
	.loc	1 31 51 is_stmt 1               ; matmul.py:31:51
	s_cmp_ge_i32 s21, s10
	s_delay_alu instid0(VALU_DEP_2) | instskip(NEXT) | instid1(VALU_DEP_1)
	.loc	1 23 68                         ; matmul.py:23:68
	v_sub_nc_u32_e32 v1, v2, v1
	v_subrev_nc_u32_e32 v2, s16, v1
	v_cmp_le_u32_e32 vcc_lo, s16, v1
	s_wait_alu depctr_va_vcc(0)
	s_delay_alu instid0(VALU_DEP_2) | instskip(NEXT) | instid1(VALU_DEP_1)
	v_cndmask_b32_e32 v1, v1, v2, vcc_lo
	v_subrev_nc_u32_e32 v2, s16, v1
	v_cmp_le_u32_e32 vcc_lo, s16, v1
	s_wait_alu depctr_va_vcc(0)
	s_delay_alu instid0(VALU_DEP_2) | instskip(NEXT) | instid1(VALU_DEP_1)
	v_cndmask_b32_e32 v1, v1, v2, vcc_lo
	v_xor_b32_e32 v1, s17, v1
	s_delay_alu instid0(VALU_DEP_1) | instskip(SKIP_1) | instid1(VALU_DEP_1)
	v_subrev_nc_u32_e32 v1, s17, v1
	.loc	1 26 52                         ; matmul.py:26:52
	s_wait_alu depctr_sa_sdst(0)
	v_mad_co_u64_u32 v[1:2], null, v1, s15, s[2:3]
	.loc	1 31 51                         ; matmul.py:31:51
	s_cselect_b32 s2, -1, 0
	.loc	1 29 22                         ; matmul.py:29:22
	s_xor_b32 s12, s20, -1
	.loc	1 31 20                         ; matmul.py:31:20
	s_wait_alu depctr_sa_sdst(0)
	s_or_b32 s2, s2, s12
	s_wait_alu depctr_sa_sdst(0)
	s_and_b32 vcc_lo, exec_lo, s2
	.loc	1 26 22                         ; matmul.py:26:22
	v_ashrrev_i32_e32 v2, 31, v1
	s_delay_alu instid0(VALU_DEP_1) | instskip(SKIP_1) | instid1(VALU_DEP_2)
	v_lshlrev_b64_e32 v[41:42], 1, v[1:2]
	v_mov_b32_e32 v2, 0
	v_add_co_u32 v65, s2, s6, v41
	s_wait_alu depctr_va_sdst(0)
	s_delay_alu instid0(VALU_DEP_3)
	v_add_co_ci_u32_e64 v66, null, s7, v42, s2
	.loc	1 31 20                         ; matmul.py:31:20
	s_wait_alu depctr_sa_sdst(0)
	s_cbranch_vccnz .LBB0_18
; %bb.17:
	global_load_u16 v5, v[65:66], off
.LBB0_18:
	.loc	1 26 52                         ; matmul.py:26:52
	v_lshl_add_u32 v6, s14, 1, v1
	.loc	1 26 29 is_stmt 0               ; matmul.py:26:29
	s_or_b32 s11, s21, 2
	.loc	1 31 51 is_stmt 1               ; matmul.py:31:51
	s_wait_alu depctr_sa_sdst(0)
	s_cmp_ge_i32 s11, s10
	s_cselect_b32 s2, -1, 0
	.loc	1 26 22                         ; matmul.py:26:22
	v_ashrrev_i32_e32 v7, 31, v6
	.loc	1 31 20                         ; matmul.py:31:20
	s_wait_alu depctr_sa_sdst(0)
	s_or_b32 s2, s2, s12
	s_delay_alu instid0(VALU_DEP_1) | instskip(NEXT) | instid1(VALU_DEP_1)
	.loc	1 26 22                         ; matmul.py:26:22
	v_lshlrev_b64_e32 v[43:44], 1, v[6:7]
	v_add_co_u32 v67, vcc_lo, s6, v43
	s_wait_alu depctr_va_vcc(0)
	s_delay_alu instid0(VALU_DEP_2)
	v_add_co_ci_u32_e64 v68, null, s7, v44, vcc_lo
	.loc	1 31 20                         ; matmul.py:31:20
	s_wait_alu depctr_sa_sdst(0)
	s_and_b32 vcc_lo, exec_lo, s2
	s_wait_alu depctr_sa_sdst(0)
	s_cbranch_vccnz .LBB0_20
; %bb.19:
	global_load_u16 v2, v[67:68], off
.LBB0_20:
	.loc	1 26 52                         ; matmul.py:26:52
	v_lshl_add_u32 v6, s14, 2, v1
	.loc	1 26 29 is_stmt 0               ; matmul.py:26:29
	s_or_b32 s22, s21, 4
	s_delay_alu instid0(SALU_CYCLE_1) | instskip(SKIP_1) | instid1(VALU_DEP_1)
	.loc	1 31 51 is_stmt 1               ; matmul.py:31:51
	s_cmp_ge_i32 s22, s10
	s_cselect_b32 s2, -1, 0
	.loc	1 26 22                         ; matmul.py:26:22
	v_ashrrev_i32_e32 v7, 31, v6
	.loc	1 31 20                         ; matmul.py:31:20
	s_wait_alu depctr_sa_sdst(0)
	s_or_b32 s2, s2, s12
	s_wait_alu depctr_sa_sdst(0)
	s_and_b32 vcc_lo, exec_lo, s2
	.loc	1 26 22                         ; matmul.py:26:22
	v_lshlrev_b64_e32 v[45:46], 1, v[6:7]
	v_dual_mov_b32 v6, 0 :: v_dual_mov_b32 v7, 0
	s_delay_alu instid0(VALU_DEP_2) | instskip(SKIP_1) | instid1(VALU_DEP_3)
	v_add_co_u32 v69, s2, s6, v45
	s_wait_alu depctr_va_sdst(0)
	v_add_co_ci_u32_e64 v70, null, s7, v46, s2
	.loc	1 31 20                         ; matmul.py:31:20
	s_wait_alu depctr_sa_sdst(0)
	s_cbranch_vccnz .LBB0_22
; %bb.21:
	global_load_u16 v7, v[69:70], off
.LBB0_22:
	.loc	1 26 52                         ; matmul.py:26:52
	s_wait_loadcnt 0x0
	v_mad_co_u64_u32 v[11:12], null, s14, 6, v[1:2]
	.loc	1 26 29 is_stmt 0               ; matmul.py:26:29
	s_or_b32 s23, s21, 6
	s_delay_alu instid0(SALU_CYCLE_1) | instskip(SKIP_4) | instid1(VALU_DEP_1)
	.loc	1 31 51 is_stmt 1               ; matmul.py:31:51
	s_cmp_ge_i32 s23, s10
	s_cselect_b32 s2, -1, 0
	.loc	1 31 20 is_stmt 0               ; matmul.py:31:20
	s_wait_alu depctr_sa_sdst(0)
	s_or_b32 s2, s2, s12
	.loc	1 26 22 is_stmt 1               ; matmul.py:26:22
	v_ashrrev_i32_e32 v12, 31, v11
	v_lshlrev_b64_e32 v[47:48], 1, v[11:12]
	s_delay_alu instid0(VALU_DEP_1) | instskip(SKIP_1) | instid1(VALU_DEP_2)
	v_add_co_u32 v71, vcc_lo, s6, v47
	s_wait_alu depctr_va_vcc(0)
	v_add_co_ci_u32_e64 v72, null, s7, v48, vcc_lo
	.loc	1 31 20                         ; matmul.py:31:20
	s_wait_alu depctr_sa_sdst(0)
	s_and_b32 vcc_lo, exec_lo, s2
	s_wait_alu depctr_sa_sdst(0)
	s_cbranch_vccnz .LBB0_24
; %bb.23:
	global_load_u16 v6, v[71:72], off
.LBB0_24:
	.loc	1 26 52                         ; matmul.py:26:52
	v_lshl_add_u32 v11, s14, 3, v1
	.loc	1 26 29 is_stmt 0               ; matmul.py:26:29
	s_or_b32 s24, s21, 8
	v_dual_mov_b32 v89, 0 :: v_dual_mov_b32 v90, 0
	.loc	1 31 51 is_stmt 1               ; matmul.py:31:51
	s_cmp_ge_i32 s24, s10
	s_delay_alu instid0(VALU_DEP_2)
	.loc	1 26 22                         ; matmul.py:26:22
	v_ashrrev_i32_e32 v12, 31, v11
	.loc	1 31 51                         ; matmul.py:31:51
	s_cselect_b32 s2, -1, 0
	.loc	1 31 20 is_stmt 0               ; matmul.py:31:20
	s_wait_alu depctr_sa_sdst(0)
	s_or_b32 s2, s2, s12
	s_wait_alu depctr_sa_sdst(0)
	s_and_b32 vcc_lo, exec_lo, s2
	.loc	1 26 22 is_stmt 1               ; matmul.py:26:22
	v_lshlrev_b64_e32 v[49:50], 1, v[11:12]
	s_delay_alu instid0(VALU_DEP_1) | instskip(SKIP_1) | instid1(VALU_DEP_2)
	v_add_co_u32 v73, s2, s6, v49
	s_wait_alu depctr_va_sdst(0)
	v_add_co_ci_u32_e64 v74, null, s7, v50, s2
	.loc	1 31 20                         ; matmul.py:31:20
	s_wait_alu depctr_sa_sdst(0)
	s_cbranch_vccnz .LBB0_26
; %bb.25:
	global_load_u16 v90, v[73:74], off
.LBB0_26:
	.loc	1 26 52                         ; matmul.py:26:52
	v_mad_co_u64_u32 v[11:12], null, s14, 10, v[1:2]
	.loc	1 26 29 is_stmt 0               ; matmul.py:26:29
	s_or_b32 s26, s21, 10
	s_delay_alu instid0(SALU_CYCLE_1) | instskip(SKIP_4) | instid1(VALU_DEP_1)
	.loc	1 31 51 is_stmt 1               ; matmul.py:31:51
	s_cmp_ge_i32 s26, s10
	s_cselect_b32 s2, -1, 0
	.loc	1 31 20 is_stmt 0               ; matmul.py:31:20
	s_wait_alu depctr_sa_sdst(0)
	s_or_b32 s2, s2, s12
	.loc	1 26 22 is_stmt 1               ; matmul.py:26:22
	v_ashrrev_i32_e32 v12, 31, v11
	v_lshlrev_b64_e32 v[51:52], 1, v[11:12]
	s_delay_alu instid0(VALU_DEP_1) | instskip(SKIP_1) | instid1(VALU_DEP_2)
	v_add_co_u32 v75, vcc_lo, s6, v51
	s_wait_alu depctr_va_vcc(0)
	v_add_co_ci_u32_e64 v76, null, s7, v52, vcc_lo
	.loc	1 31 20                         ; matmul.py:31:20
	s_wait_alu depctr_sa_sdst(0)
	s_and_b32 vcc_lo, exec_lo, s2
	s_wait_alu depctr_sa_sdst(0)
	s_cbranch_vccnz .LBB0_28
; %bb.27:
	global_load_u16 v89, v[75:76], off
.LBB0_28:
	.loc	1 26 52                         ; matmul.py:26:52
	v_mad_co_u64_u32 v[11:12], null, s14, 12, v[1:2]
	.loc	1 26 29 is_stmt 0               ; matmul.py:26:29
	s_or_b32 s27, s21, 12
	v_dual_mov_b32 v91, 0 :: v_dual_mov_b32 v92, 0
	.loc	1 31 51 is_stmt 1               ; matmul.py:31:51
	s_cmp_ge_i32 s27, s10
	s_cselect_b32 s2, -1, 0
	.loc	1 26 22                         ; matmul.py:26:22
	v_ashrrev_i32_e32 v12, 31, v11
	.loc	1 31 20                         ; matmul.py:31:20
	s_wait_alu depctr_sa_sdst(0)
	s_or_b32 s2, s2, s12
	s_wait_alu depctr_sa_sdst(0)
	s_and_b32 vcc_lo, exec_lo, s2
	.loc	1 26 22                         ; matmul.py:26:22
	v_lshlrev_b64_e32 v[53:54], 1, v[11:12]
	s_delay_alu instid0(VALU_DEP_1) | instskip(SKIP_1) | instid1(VALU_DEP_2)
	v_add_co_u32 v77, s2, s6, v53
	s_wait_alu depctr_va_sdst(0)
	v_add_co_ci_u32_e64 v78, null, s7, v54, s2
	.loc	1 31 20                         ; matmul.py:31:20
	s_wait_alu depctr_sa_sdst(0)
	s_cbranch_vccnz .LBB0_30
; %bb.29:
	global_load_u16 v92, v[77:78], off
.LBB0_30:
	.loc	1 26 52                         ; matmul.py:26:52
	v_mad_co_u64_u32 v[11:12], null, s14, 14, v[1:2]
	.loc	1 26 29 is_stmt 0               ; matmul.py:26:29
	s_or_b32 s28, s21, 14
	s_delay_alu instid0(SALU_CYCLE_1) | instskip(SKIP_4) | instid1(VALU_DEP_1)
	.loc	1 31 51 is_stmt 1               ; matmul.py:31:51
	s_cmp_ge_i32 s28, s10
	s_cselect_b32 s2, -1, 0
	.loc	1 31 20 is_stmt 0               ; matmul.py:31:20
	s_wait_alu depctr_sa_sdst(0)
	s_or_b32 s2, s2, s12
	.loc	1 26 22 is_stmt 1               ; matmul.py:26:22
	v_ashrrev_i32_e32 v12, 31, v11
	v_lshlrev_b64_e32 v[55:56], 1, v[11:12]
	s_delay_alu instid0(VALU_DEP_1) | instskip(SKIP_1) | instid1(VALU_DEP_2)
	v_add_co_u32 v79, vcc_lo, s6, v55
	s_wait_alu depctr_va_vcc(0)
	v_add_co_ci_u32_e64 v80, null, s7, v56, vcc_lo
	.loc	1 31 20                         ; matmul.py:31:20
	s_wait_alu depctr_sa_sdst(0)
	s_and_b32 vcc_lo, exec_lo, s2
	s_wait_alu depctr_sa_sdst(0)
	s_cbranch_vccnz .LBB0_32
; %bb.31:
	global_load_u16 v91, v[79:80], off
.LBB0_32:
	.loc	1 0 20 is_stmt 0                ; matmul.py:0:20
	v_dual_mov_b32 v8, 0 :: v_dual_lshlrev_b32 v1, 1, v82
	s_load_b64 s[12:13], s[0:1], 0x10
	v_dual_mov_b32 v15, 0 :: v_dual_mov_b32 v12, 0
	s_delay_alu instid0(VALU_DEP_2) | instskip(SKIP_3) | instid1(VALU_DEP_3)
	.loc	1 30 20 is_stmt 1               ; matmul.py:30:20
	v_and_b32_e32 v1, 0x7e, v1
	v_mov_b32_e32 v13, 0
	.loc	1 29 22                         ; matmul.py:29:22
	s_cmp_lt_i32 s25, 32
	v_mov_b32_e32 v16, 0
	v_dual_mov_b32 v14, 0 :: v_dual_add_nc_u32 v83, 0, v1
	.loc	1 30 20                         ; matmul.py:30:20
	ds_store_b16 v83, v9
	ds_store_b16 v83, v10 offset:256
	ds_store_b16 v83, v4 offset:512
	;; [unrolled: 1-line block ×3, first 2 shown]
	.loc	1 31 20                         ; matmul.py:31:20
	ds_store_b16 v83, v5 offset:1024
	ds_store_b16 v83, v2 offset:1152
	;; [unrolled: 1-line block ×3, first 2 shown]
	s_wait_loadcnt 0x0
	ds_store_b16 v83, v6 offset:1408
	v_mov_b32_e32 v6, 0
	v_xor_b32_e32 v11, 16, v1
	v_dual_mov_b32 v5, 0 :: v_dual_mov_b32 v2, 0
	v_dual_mov_b32 v7, 0 :: v_dual_mov_b32 v4, 0
	s_delay_alu instid0(VALU_DEP_3)
	v_dual_mov_b32 v3, 0 :: v_dual_add_nc_u32 v84, 0, v11
	v_mov_b32_e32 v1, 0
	v_dual_mov_b32 v11, 0 :: v_dual_mov_b32 v10, 0
	v_mov_b32_e32 v9, 0
	ds_store_b16 v83, v90 offset:1536
	ds_store_b16 v83, v89 offset:1664
	;; [unrolled: 1-line block ×3, first 2 shown]
	.loc	1 30 20                         ; matmul.py:30:20
	ds_store_b16 v84, v85 offset:128
	ds_store_b16 v84, v86 offset:384
	;; [unrolled: 1-line block ×4, first 2 shown]
	.loc	1 31 20                         ; matmul.py:31:20
	ds_store_b16 v83, v91 offset:1920
	.loc	1 29 22                         ; matmul.py:29:22
	s_cbranch_scc1 .LBB0_93
; %bb.33:                               ; %.lr.ph
	.loc	1 30 55                         ; matmul.py:30:55
	s_add_co_i32 s15, s10, -16
	v_dual_mov_b32 v85, 0 :: v_dual_mov_b32 v86, 0
	.loc	1 30 51 is_stmt 0               ; matmul.py:30:51
	s_wait_alu depctr_sa_sdst(0)
	v_cmp_gt_u32_e32 vcc_lo, s15, v81
	.loc	1 33 33 is_stmt 1               ; matmul.py:33:33
	s_lshl_b32 s16, s3, 4
	s_wait_alu depctr_sa_sdst(0)
	s_ashr_i32 s17, s16, 31
	.loc	1 30 20                         ; matmul.py:30:20
	s_and_saveexec_b32 s3, vcc_lo
	s_cbranch_execz .LBB0_35
; %bb.34:
	.loc	1 33 18                         ; matmul.py:33:18
	s_wait_alu depctr_sa_sdst(0)
	s_lshl_b64 s[30:31], s[16:17], 1
	s_delay_alu instid0(SALU_CYCLE_1)
	v_add_co_u32 v1, s2, v17, s30
	s_wait_alu depctr_va_sdst(0)
	v_add_co_ci_u32_e64 v2, null, s31, v18, s2
	.loc	1 30 20                         ; matmul.py:30:20
	global_load_u16 v86, v[1:2], off
.LBB0_35:
	.loc	1 0 20 is_stmt 0                ; matmul.py:0:20
	s_wait_alu depctr_sa_sdst(0)
	s_or_b32 exec_lo, exec_lo, s3
	.loc	1 30 20                         ; matmul.py:30:20
	s_and_saveexec_b32 s3, vcc_lo
	s_cbranch_execz .LBB0_37
; %bb.36:
	.loc	1 33 18 is_stmt 1               ; matmul.py:33:18
	s_lshl_b64 s[30:31], s[16:17], 1
	s_wait_alu depctr_sa_sdst(0)
	v_add_co_u32 v1, s2, v19, s30
	s_wait_alu depctr_va_sdst(0)
	v_add_co_ci_u32_e64 v2, null, s31, v20, s2
	.loc	1 30 20                         ; matmul.py:30:20
	global_load_u16 v85, v[1:2], off
.LBB0_37:
	.loc	1 0 20 is_stmt 0                ; matmul.py:0:20
	s_wait_alu depctr_sa_sdst(0)
	s_or_b32 exec_lo, exec_lo, s3
	v_dual_mov_b32 v87, 0 :: v_dual_mov_b32 v88, 0
	.loc	1 30 20                         ; matmul.py:30:20
	s_and_saveexec_b32 s3, vcc_lo
	s_cbranch_execz .LBB0_39
; %bb.38:
	.loc	1 33 18 is_stmt 1               ; matmul.py:33:18
	s_lshl_b64 s[30:31], s[16:17], 1
	s_wait_alu depctr_sa_sdst(0)
	v_add_co_u32 v1, s2, v21, s30
	s_wait_alu depctr_va_sdst(0)
	v_add_co_ci_u32_e64 v2, null, s31, v22, s2
	.loc	1 30 20                         ; matmul.py:30:20
	global_load_u16 v88, v[1:2], off
.LBB0_39:
	.loc	1 0 20 is_stmt 0                ; matmul.py:0:20
	s_wait_alu depctr_sa_sdst(0)
	s_or_b32 exec_lo, exec_lo, s3
	.loc	1 30 20                         ; matmul.py:30:20
	s_and_saveexec_b32 s3, vcc_lo
	s_cbranch_execz .LBB0_41
; %bb.40:
	.loc	1 33 18 is_stmt 1               ; matmul.py:33:18
	s_lshl_b64 s[30:31], s[16:17], 1
	s_wait_alu depctr_sa_sdst(0)
	v_add_co_u32 v1, s2, v23, s30
	s_wait_alu depctr_va_sdst(0)
	v_add_co_ci_u32_e64 v2, null, s31, v24, s2
	.loc	1 30 20                         ; matmul.py:30:20
	global_load_u16 v87, v[1:2], off
.LBB0_41:
	.loc	1 0 20 is_stmt 0                ; matmul.py:0:20
	s_wait_alu depctr_sa_sdst(0)
	s_or_b32 exec_lo, exec_lo, s3
	v_dual_mov_b32 v21, 0 :: v_dual_mov_b32 v22, 0
	.loc	1 30 20                         ; matmul.py:30:20
	s_and_saveexec_b32 s3, vcc_lo
	s_cbranch_execz .LBB0_43
; %bb.42:
	.loc	1 33 18 is_stmt 1               ; matmul.py:33:18
	s_lshl_b64 s[30:31], s[16:17], 1
	s_wait_alu depctr_sa_sdst(0)
	v_add_co_u32 v1, s2, v57, s30
	s_wait_alu depctr_va_sdst(0)
	v_add_co_ci_u32_e64 v2, null, s31, v58, s2
	.loc	1 30 20                         ; matmul.py:30:20
	global_load_u16 v22, v[1:2], off
.LBB0_43:
	;; [unrolled: 33-line block ×3, first 2 shown]
	.loc	1 0 20 is_stmt 0                ; matmul.py:0:20
	s_wait_alu depctr_sa_sdst(0)
	s_or_b32 exec_lo, exec_lo, s3
	.loc	1 30 20                         ; matmul.py:30:20
	s_and_saveexec_b32 s2, vcc_lo
	s_cbranch_execz .LBB0_49
; %bb.48:
	.loc	1 33 18 is_stmt 1               ; matmul.py:33:18
	s_lshl_b64 s[30:31], s[16:17], 1
	s_wait_alu depctr_sa_sdst(0)
	v_add_co_u32 v1, vcc_lo, v63, s30
	s_wait_alu depctr_va_vcc(0)
	v_add_co_ci_u32_e64 v2, null, s31, v64, vcc_lo
	.loc	1 30 20                         ; matmul.py:30:20
	global_load_u16 v23, v[1:2], off
.LBB0_49:
	.loc	1 0 20 is_stmt 0                ; matmul.py:0:20
	s_wait_alu depctr_sa_sdst(0)
	s_or_b32 exec_lo, exec_lo, s2
	v_dual_mov_b32 v60, 0 :: v_dual_lshlrev_b32 v1, 5, v0
	v_bfe_i32 v2, v0, 2, 1
	.loc	1 30 20                         ; matmul.py:30:20
	s_wait_loadcnt_dscnt 0x0
	s_barrier_signal -1
	s_delay_alu instid0(VALU_DEP_2)
	v_and_b32_e32 v1, 0x160, v1
	v_and_b32_e32 v5, 16, v0
	.loc	1 34 33 is_stmt 1               ; matmul.py:34:33
	s_lshl_b32 s2, s14, 4
	v_mov_b32_e32 v59, 0
	s_wait_alu depctr_sa_sdst(0)
	s_ashr_i32 s3, s2, 31
	v_and_or_b32 v1, 0x90, v2, v1
	.loc	1 31 51                         ; matmul.py:31:51
	s_cmp_ge_u32 s21, s15
	s_delay_alu instid0(VALU_DEP_1) | instskip(SKIP_1) | instid1(VALU_DEP_1)
	v_xor_b32_e32 v1, v1, v5
	.loc	1 30 20                         ; matmul.py:30:20
	s_barrier_wait -1
	v_add_nc_u32_e32 v57, 0, v1
	global_inv scope:SCOPE_SE
	ds_load_b128 v[1:4], v57
	ds_load_b128 v[17:20], v57 offset:512
	.loc	1 31 20                         ; matmul.py:31:20
	s_cbranch_scc0 .LBB0_128
; %bb.50:
	.loc	1 31 51 is_stmt 0               ; matmul.py:31:51
	s_cmp_ge_u32 s11, s15
	.loc	1 31 20                         ; matmul.py:31:20
	s_cbranch_scc0 .LBB0_129
.LBB0_51:
	.loc	1 0 20                          ; matmul.py:0:20
	v_dual_mov_b32 v61, 0 :: v_dual_mov_b32 v62, 0
	.loc	1 31 51                         ; matmul.py:31:51
	s_cmp_ge_u32 s22, s15
	.loc	1 31 20                         ; matmul.py:31:20
	s_cbranch_scc0 .LBB0_130
.LBB0_52:
	.loc	1 31 51                         ; matmul.py:31:51
	s_cmp_ge_u32 s23, s15
	.loc	1 31 20                         ; matmul.py:31:20
	s_cbranch_scc0 .LBB0_131
.LBB0_53:
	.loc	1 0 20                          ; matmul.py:0:20
	v_dual_mov_b32 v63, 0 :: v_dual_mov_b32 v64, 0
	.loc	1 31 51                         ; matmul.py:31:51
	s_cmp_ge_u32 s24, s15
	.loc	1 31 20                         ; matmul.py:31:20
	s_cbranch_scc0 .LBB0_132
.LBB0_54:
	.loc	1 31 51                         ; matmul.py:31:51
	s_cmp_ge_u32 s26, s15
	.loc	1 31 20                         ; matmul.py:31:20
	s_cbranch_scc0 .LBB0_133
.LBB0_55:
	.loc	1 0 20                          ; matmul.py:0:20
	v_dual_mov_b32 v65, 0 :: v_dual_mov_b32 v66, 0
	.loc	1 31 51                         ; matmul.py:31:51
	s_cmp_ge_u32 s27, s15
	.loc	1 31 20                         ; matmul.py:31:20
	s_cbranch_scc0 .LBB0_134
.LBB0_56:
	.loc	1 31 51                         ; matmul.py:31:51
	s_cmp_ge_u32 s28, s15
	.loc	1 31 20                         ; matmul.py:31:20
	s_cbranch_scc1 .LBB0_58
.LBB0_57:
	.loc	1 34 18 is_stmt 1               ; matmul.py:34:18
	s_wait_alu depctr_sa_sdst(0)
	s_lshl_b64 s[14:15], s[2:3], 1
	s_wait_alu depctr_sa_sdst(0)
	v_add_co_u32 v6, vcc_lo, v79, s14
	s_wait_alu depctr_va_vcc(0)
	v_add_co_ci_u32_e64 v7, null, s15, v80, vcc_lo
	.loc	1 31 20                         ; matmul.py:31:20
	global_load_u16 v65, v[6:7], off
.LBB0_58:
	.loc	1 0 20 is_stmt 0                ; matmul.py:0:20
	v_or_b32_e32 v5, s21, v5
	v_lshlrev_b32_e32 v6, 1, v81
.Ltmp14:
	.loc	2 43 30 is_stmt 1               ; standard.py:43:30 @[ matmul.py:29:33 ]
	s_ashr_i32 s14, s25, 31
	s_wait_alu depctr_sa_sdst(0)
	s_lshr_b32 s14, s14, 28
.Ltmp15:
	.loc	1 31 20                         ; matmul.py:31:20
	v_lshl_add_u32 v5, v5, 5, 0
.Ltmp16:
	.loc	2 43 30                         ; standard.py:43:30 @[ matmul.py:29:33 ]
	s_wait_alu depctr_sa_sdst(0)
	s_add_co_i32 s25, s25, s14
	s_delay_alu instid0(SALU_CYCLE_1)
	s_ashr_i32 s14, s25, 4
.Ltmp17:
	.loc	1 29 22                         ; matmul.py:29:22
	s_wait_alu depctr_sa_sdst(0)
	s_max_i32 s25, s14, 2
	.loc	1 31 20                         ; matmul.py:31:20
	v_add_nc_u32_e32 v58, v5, v6
	.loc	1 29 22                         ; matmul.py:29:22
	s_cmp_eq_u32 s25, 2
	.loc	1 31 20                         ; matmul.py:31:20
	ds_load_u16 v67, v58 offset:1024
	ds_load_u16 v68, v58 offset:1152
	;; [unrolled: 1-line block ×4, first 2 shown]
	s_wait_dscnt 0x3
	ds_load_u16_d16_hi v67, v58 offset:1088
	s_wait_dscnt 0x3
	ds_load_u16_d16_hi v68, v58 offset:1216
	;; [unrolled: 2-line block ×4, first 2 shown]
	.loc	1 32 35                         ; matmul.py:32:35
	s_wait_dscnt 0x0
	v_wmma_f32_16x16x16_f16 v[9:16], v[67:70], v[1:4], 0
	v_wmma_f32_16x16x16_f16 v[1:8], v[67:70], v[17:20], 0
	.loc	1 30 20                         ; matmul.py:30:20
	s_wait_loadcnt 0x0
	s_barrier_signal -1
	s_barrier_wait -1
	global_inv scope:SCOPE_SE
	ds_store_b16 v83, v86
	ds_store_b16 v83, v88 offset:256
	ds_store_b16 v83, v22 offset:512
	;; [unrolled: 1-line block ×3, first 2 shown]
	.loc	1 31 20                         ; matmul.py:31:20
	ds_store_b16 v83, v60 offset:1024
	ds_store_b16 v83, v59 offset:1152
	;; [unrolled: 1-line block ×7, first 2 shown]
	.loc	1 30 20                         ; matmul.py:30:20
	ds_store_b16 v84, v85 offset:128
	ds_store_b16 v84, v87 offset:384
	;; [unrolled: 1-line block ×4, first 2 shown]
	.loc	1 31 20                         ; matmul.py:31:20
	ds_store_b16 v83, v65 offset:1920
	.loc	1 29 22                         ; matmul.py:29:22
	s_cbranch_scc1 .LBB0_93
; %bb.59:                               ; %.peel.next
	s_lshl_b64 s[14:15], s[2:3], 2
	s_lshl_b64 s[30:31], s[16:17], 2
	s_wait_alu depctr_sa_sdst(0)
	s_add_nc_u64 s[6:7], s[6:7], s[14:15]
	s_lshl_b64 s[14:15], s[2:3], 1
	s_add_nc_u64 s[4:5], s[4:5], s[30:31]
	s_lshl_b64 s[16:17], s[16:17], 1
	s_add_co_i32 s3, s25, -2
	s_sub_co_i32 s10, s10, 32
	s_branch .LBB0_61
.LBB0_60:                               ;   in Loop: Header=BB0_61 Depth=1
	.loc	1 31 20                         ; matmul.py:31:20
	ds_load_u16 v75, v58 offset:1024
	ds_load_u16 v76, v58 offset:1152
	;; [unrolled: 1-line block ×4, first 2 shown]
	.loc	1 29 22                         ; matmul.py:29:22
	s_add_co_i32 s3, s3, -1
	s_add_co_i32 s10, s10, -16
	s_add_nc_u64 s[6:7], s[6:7], s[14:15]
	s_add_nc_u64 s[4:5], s[4:5], s[16:17]
	s_wait_alu depctr_sa_sdst(0)
	s_cmp_lg_u32 s3, 0
	.loc	1 31 20                         ; matmul.py:31:20
	s_wait_dscnt 0x3
	ds_load_u16_d16_hi v75, v58 offset:1088
	s_wait_dscnt 0x3
	ds_load_u16_d16_hi v76, v58 offset:1216
	;; [unrolled: 2-line block ×4, first 2 shown]
	.loc	1 32 35                         ; matmul.py:32:35
	s_wait_dscnt 0x0
	v_wmma_f32_16x16x16_f16 v[9:16], v[75:78], v[17:20], v[9:16]
	v_wmma_f32_16x16x16_f16 v[1:8], v[75:78], v[21:24], v[1:8]
	.loc	1 30 20                         ; matmul.py:30:20
	s_wait_loadcnt 0x0
	s_barrier_signal -1
	s_barrier_wait -1
	global_inv scope:SCOPE_SE
	ds_store_b16 v83, v60
	ds_store_b16 v83, v62 offset:256
	ds_store_b16 v83, v64 offset:512
	;; [unrolled: 1-line block ×3, first 2 shown]
	.loc	1 31 20                         ; matmul.py:31:20
	ds_store_b16 v83, v68 offset:1024
	ds_store_b16 v83, v67 offset:1152
	;; [unrolled: 1-line block ×7, first 2 shown]
	.loc	1 30 20                         ; matmul.py:30:20
	ds_store_b16 v84, v59 offset:128
	ds_store_b16 v84, v61 offset:384
	;; [unrolled: 1-line block ×4, first 2 shown]
	.loc	1 31 20                         ; matmul.py:31:20
	ds_store_b16 v83, v73 offset:1920
	.loc	1 29 22                         ; matmul.py:29:22
	s_cbranch_scc0 .LBB0_93
.LBB0_61:                               ; =>This Inner Loop Header: Depth=1
	.loc	1 30 51                         ; matmul.py:30:51
	s_wait_alu depctr_sa_sdst(0)
	v_cmp_gt_i32_e32 vcc_lo, s10, v81
	v_dual_mov_b32 v59, 0 :: v_dual_mov_b32 v60, 0
	.loc	1 30 20 is_stmt 0               ; matmul.py:30:20
	s_and_saveexec_b32 s25, vcc_lo
	s_cbranch_execz .LBB0_63
; %bb.62:                               ;   in Loop: Header=BB0_61 Depth=1
	.loc	1 33 18 is_stmt 1               ; matmul.py:33:18
	v_add_co_u32 v17, s2, s4, v25
	s_wait_alu depctr_va_sdst(0)
	v_add_co_ci_u32_e64 v18, null, s5, v26, s2
	.loc	1 30 20                         ; matmul.py:30:20
	global_load_u16 v60, v[17:18], off
.LBB0_63:                               ;   in Loop: Header=BB0_61 Depth=1
	.loc	1 0 20 is_stmt 0                ; matmul.py:0:20
	s_or_b32 exec_lo, exec_lo, s25
	.loc	1 30 20                         ; matmul.py:30:20
	s_and_saveexec_b32 s25, vcc_lo
	s_cbranch_execz .LBB0_65
; %bb.64:                               ;   in Loop: Header=BB0_61 Depth=1
	.loc	1 33 18 is_stmt 1               ; matmul.py:33:18
	v_add_co_u32 v17, s2, s4, v27
	s_wait_alu depctr_va_sdst(0)
	v_add_co_ci_u32_e64 v18, null, s5, v28, s2
	.loc	1 30 20                         ; matmul.py:30:20
	global_load_u16 v59, v[17:18], off
.LBB0_65:                               ;   in Loop: Header=BB0_61 Depth=1
	.loc	1 0 20 is_stmt 0                ; matmul.py:0:20
	s_or_b32 exec_lo, exec_lo, s25
	v_dual_mov_b32 v61, 0 :: v_dual_mov_b32 v62, 0
	.loc	1 30 20                         ; matmul.py:30:20
	s_and_saveexec_b32 s25, vcc_lo
	s_cbranch_execz .LBB0_67
; %bb.66:                               ;   in Loop: Header=BB0_61 Depth=1
	.loc	1 33 18 is_stmt 1               ; matmul.py:33:18
	v_add_co_u32 v17, s2, s4, v29
	s_wait_alu depctr_va_sdst(0)
	v_add_co_ci_u32_e64 v18, null, s5, v30, s2
	.loc	1 30 20                         ; matmul.py:30:20
	global_load_u16 v62, v[17:18], off
.LBB0_67:                               ;   in Loop: Header=BB0_61 Depth=1
	.loc	1 0 20 is_stmt 0                ; matmul.py:0:20
	s_or_b32 exec_lo, exec_lo, s25
	.loc	1 30 20                         ; matmul.py:30:20
	s_and_saveexec_b32 s25, vcc_lo
	s_cbranch_execz .LBB0_69
; %bb.68:                               ;   in Loop: Header=BB0_61 Depth=1
	.loc	1 33 18 is_stmt 1               ; matmul.py:33:18
	v_add_co_u32 v17, s2, s4, v31
	s_wait_alu depctr_va_sdst(0)
	v_add_co_ci_u32_e64 v18, null, s5, v32, s2
	.loc	1 30 20                         ; matmul.py:30:20
	global_load_u16 v61, v[17:18], off
.LBB0_69:                               ;   in Loop: Header=BB0_61 Depth=1
	.loc	1 0 20 is_stmt 0                ; matmul.py:0:20
	s_or_b32 exec_lo, exec_lo, s25
	v_dual_mov_b32 v63, 0 :: v_dual_mov_b32 v64, 0
	.loc	1 30 20                         ; matmul.py:30:20
	;; [unrolled: 27-line block ×3, first 2 shown]
	s_and_saveexec_b32 s25, vcc_lo
	s_cbranch_execz .LBB0_75
; %bb.74:                               ;   in Loop: Header=BB0_61 Depth=1
	.loc	1 33 18 is_stmt 1               ; matmul.py:33:18
	v_add_co_u32 v17, s2, s4, v37
	s_wait_alu depctr_va_sdst(0)
	v_add_co_ci_u32_e64 v18, null, s5, v38, s2
	.loc	1 30 20                         ; matmul.py:30:20
	global_load_u16 v66, v[17:18], off
.LBB0_75:                               ;   in Loop: Header=BB0_61 Depth=1
	.loc	1 0 20 is_stmt 0                ; matmul.py:0:20
	s_or_b32 exec_lo, exec_lo, s25
	.loc	1 30 20                         ; matmul.py:30:20
	s_and_saveexec_b32 s2, vcc_lo
	s_cbranch_execz .LBB0_77
; %bb.76:                               ;   in Loop: Header=BB0_61 Depth=1
	.loc	1 34 18 is_stmt 1               ; matmul.py:34:18
	v_add_co_u32 v17, vcc_lo, s4, v39
	s_wait_alu depctr_va_vcc(0)
	v_add_co_ci_u32_e64 v18, null, s5, v40, vcc_lo
	.loc	1 30 20                         ; matmul.py:30:20
	global_load_u16 v65, v[17:18], off
.LBB0_77:                               ;   in Loop: Header=BB0_61 Depth=1
	.loc	1 0 20 is_stmt 0                ; matmul.py:0:20
	s_wait_alu depctr_sa_sdst(0)
	s_or_b32 exec_lo, exec_lo, s2
	.loc	1 30 20                         ; matmul.py:30:20
	s_wait_loadcnt_dscnt 0x0
	s_barrier_signal -1
	v_dual_mov_b32 v67, 0 :: v_dual_mov_b32 v68, 0
	.loc	1 31 51 is_stmt 1               ; matmul.py:31:51
	s_cmp_ge_i32 s21, s10
	.loc	1 30 20                         ; matmul.py:30:20
	s_barrier_wait -1
	global_inv scope:SCOPE_SE
	ds_load_b128 v[17:20], v57
	ds_load_b128 v[21:24], v57 offset:512
	.loc	1 31 20                         ; matmul.py:31:20
	s_cbranch_scc0 .LBB0_85
; %bb.78:                               ;   in Loop: Header=BB0_61 Depth=1
	.loc	1 31 51 is_stmt 0               ; matmul.py:31:51
	s_cmp_ge_i32 s11, s10
	.loc	1 31 20                         ; matmul.py:31:20
	s_cbranch_scc0 .LBB0_86
.LBB0_79:                               ;   in Loop: Header=BB0_61 Depth=1
	.loc	1 0 20                          ; matmul.py:0:20
	v_dual_mov_b32 v69, 0 :: v_dual_mov_b32 v70, 0
	.loc	1 31 51                         ; matmul.py:31:51
	s_cmp_ge_i32 s22, s10
	.loc	1 31 20                         ; matmul.py:31:20
	s_cbranch_scc0 .LBB0_87
.LBB0_80:                               ;   in Loop: Header=BB0_61 Depth=1
	.loc	1 31 51                         ; matmul.py:31:51
	s_cmp_ge_i32 s23, s10
	.loc	1 31 20                         ; matmul.py:31:20
	s_cbranch_scc0 .LBB0_88
.LBB0_81:                               ;   in Loop: Header=BB0_61 Depth=1
	.loc	1 0 20                          ; matmul.py:0:20
	v_dual_mov_b32 v71, 0 :: v_dual_mov_b32 v72, 0
	.loc	1 31 51                         ; matmul.py:31:51
	s_cmp_ge_i32 s24, s10
	.loc	1 31 20                         ; matmul.py:31:20
	s_cbranch_scc0 .LBB0_89
.LBB0_82:                               ;   in Loop: Header=BB0_61 Depth=1
	.loc	1 31 51                         ; matmul.py:31:51
	s_cmp_ge_i32 s26, s10
	.loc	1 31 20                         ; matmul.py:31:20
	s_cbranch_scc0 .LBB0_90
.LBB0_83:                               ;   in Loop: Header=BB0_61 Depth=1
	.loc	1 0 20                          ; matmul.py:0:20
	v_dual_mov_b32 v73, 0 :: v_dual_mov_b32 v74, 0
	.loc	1 31 51                         ; matmul.py:31:51
	s_cmp_ge_i32 s27, s10
	.loc	1 31 20                         ; matmul.py:31:20
	s_cbranch_scc0 .LBB0_91
.LBB0_84:                               ;   in Loop: Header=BB0_61 Depth=1
	.loc	1 31 51                         ; matmul.py:31:51
	s_cmp_ge_i32 s28, s10
	.loc	1 31 20                         ; matmul.py:31:20
	s_cbranch_scc1 .LBB0_60
	s_branch .LBB0_92
.LBB0_85:                               ;   in Loop: Header=BB0_61 Depth=1
	.loc	1 34 18 is_stmt 1               ; matmul.py:34:18
	v_add_co_u32 v68, vcc_lo, s6, v41
	s_wait_alu depctr_va_vcc(0)
	v_add_co_ci_u32_e64 v69, null, s7, v42, vcc_lo
	.loc	1 31 20                         ; matmul.py:31:20
	global_load_u16 v68, v[68:69], off
	.loc	1 31 51 is_stmt 0               ; matmul.py:31:51
	s_cmp_ge_i32 s11, s10
	.loc	1 31 20                         ; matmul.py:31:20
	s_cbranch_scc1 .LBB0_79
.LBB0_86:                               ;   in Loop: Header=BB0_61 Depth=1
	.loc	1 34 18 is_stmt 1               ; matmul.py:34:18
	v_add_co_u32 v69, vcc_lo, s6, v43
	s_wait_alu depctr_va_vcc(0)
	v_add_co_ci_u32_e64 v70, null, s7, v44, vcc_lo
	.loc	1 31 20                         ; matmul.py:31:20
	global_load_u16 v67, v[69:70], off
	v_dual_mov_b32 v69, 0 :: v_dual_mov_b32 v70, 0
	.loc	1 31 51 is_stmt 0               ; matmul.py:31:51
	s_cmp_ge_i32 s22, s10
	.loc	1 31 20                         ; matmul.py:31:20
	s_cbranch_scc1 .LBB0_80
.LBB0_87:                               ;   in Loop: Header=BB0_61 Depth=1
	.loc	1 34 18 is_stmt 1               ; matmul.py:34:18
	v_add_co_u32 v70, vcc_lo, s6, v45
	s_wait_alu depctr_va_vcc(0)
	v_add_co_ci_u32_e64 v71, null, s7, v46, vcc_lo
	.loc	1 31 20                         ; matmul.py:31:20
	global_load_u16 v70, v[70:71], off
	.loc	1 31 51 is_stmt 0               ; matmul.py:31:51
	s_cmp_ge_i32 s23, s10
	.loc	1 31 20                         ; matmul.py:31:20
	s_cbranch_scc1 .LBB0_81
.LBB0_88:                               ;   in Loop: Header=BB0_61 Depth=1
	.loc	1 34 18 is_stmt 1               ; matmul.py:34:18
	v_add_co_u32 v71, vcc_lo, s6, v47
	s_wait_alu depctr_va_vcc(0)
	v_add_co_ci_u32_e64 v72, null, s7, v48, vcc_lo
	.loc	1 31 20                         ; matmul.py:31:20
	global_load_u16 v69, v[71:72], off
	v_dual_mov_b32 v71, 0 :: v_dual_mov_b32 v72, 0
	.loc	1 31 51 is_stmt 0               ; matmul.py:31:51
	s_cmp_ge_i32 s24, s10
	.loc	1 31 20                         ; matmul.py:31:20
	s_cbranch_scc1 .LBB0_82
.LBB0_89:                               ;   in Loop: Header=BB0_61 Depth=1
	.loc	1 34 18 is_stmt 1               ; matmul.py:34:18
	v_add_co_u32 v72, vcc_lo, s6, v49
	s_wait_alu depctr_va_vcc(0)
	v_add_co_ci_u32_e64 v73, null, s7, v50, vcc_lo
	.loc	1 31 20                         ; matmul.py:31:20
	global_load_u16 v72, v[72:73], off
	.loc	1 31 51 is_stmt 0               ; matmul.py:31:51
	s_cmp_ge_i32 s26, s10
	.loc	1 31 20                         ; matmul.py:31:20
	s_cbranch_scc1 .LBB0_83
.LBB0_90:                               ;   in Loop: Header=BB0_61 Depth=1
	.loc	1 34 18 is_stmt 1               ; matmul.py:34:18
	v_add_co_u32 v73, vcc_lo, s6, v51
	s_wait_alu depctr_va_vcc(0)
	v_add_co_ci_u32_e64 v74, null, s7, v52, vcc_lo
	.loc	1 31 20                         ; matmul.py:31:20
	global_load_u16 v71, v[73:74], off
	v_dual_mov_b32 v73, 0 :: v_dual_mov_b32 v74, 0
	.loc	1 31 51 is_stmt 0               ; matmul.py:31:51
	s_cmp_ge_i32 s27, s10
	.loc	1 31 20                         ; matmul.py:31:20
	s_cbranch_scc1 .LBB0_84
.LBB0_91:                               ;   in Loop: Header=BB0_61 Depth=1
	.loc	1 34 18 is_stmt 1               ; matmul.py:34:18
	v_add_co_u32 v74, vcc_lo, s6, v53
	s_wait_alu depctr_va_vcc(0)
	v_add_co_ci_u32_e64 v75, null, s7, v54, vcc_lo
	.loc	1 31 20                         ; matmul.py:31:20
	global_load_u16 v74, v[74:75], off
	.loc	1 31 51 is_stmt 0               ; matmul.py:31:51
	s_cmp_ge_i32 s28, s10
	.loc	1 31 20                         ; matmul.py:31:20
	s_cbranch_scc1 .LBB0_60
.LBB0_92:                               ;   in Loop: Header=BB0_61 Depth=1
	.loc	1 29 22 is_stmt 1               ; matmul.py:29:22
	v_add_co_u32 v75, vcc_lo, s6, v55
	s_wait_alu depctr_va_vcc(0)
	v_add_co_ci_u32_e64 v76, null, s7, v56, vcc_lo
	.loc	1 31 20                         ; matmul.py:31:20
	global_load_u16 v73, v[75:76], off
	s_branch .LBB0_60
.LBB0_93:                               ; %Flow123
	.loc	1 0 20 is_stmt 0                ; matmul.py:0:20
	s_load_b64 s[10:11], s[0:1], 0x34
	.loc	1 30 20 is_stmt 1               ; matmul.py:30:20
	s_wait_loadcnt_dscnt 0x0
	s_barrier_signal -1
	v_and_b32_e32 v17, 48, v82
	.loc	1 32 35                         ; matmul.py:32:35
	s_and_not1_b32 vcc_lo, exec_lo, s20
	.loc	1 30 20                         ; matmul.py:30:20
	s_barrier_wait -1
	global_inv scope:SCOPE_SE
	.loc	1 32 35                         ; matmul.py:32:35
	s_wait_alu depctr_sa_sdst(0)
	s_cbranch_vccnz .LBB0_95
; %bb.94:
	.loc	1 30 20                         ; matmul.py:30:20
	v_and_b32_e32 v22, 16, v0
	v_lshlrev_b32_e32 v24, 5, v0
	v_bfe_i32 v0, v0, 2, 1
	s_delay_alu instid0(VALU_DEP_3) | instskip(NEXT) | instid1(VALU_DEP_3)
	.loc	1 31 20                         ; matmul.py:31:20
	v_or_b32_e32 v18, s21, v22
	.loc	1 30 20                         ; matmul.py:30:20
	v_and_b32_e32 v24, 0x160, v24
	s_delay_alu instid0(VALU_DEP_2) | instskip(NEXT) | instid1(VALU_DEP_2)
	.loc	1 31 20                         ; matmul.py:31:20
	v_lshl_add_u32 v18, v18, 5, 0
	.loc	1 30 20                         ; matmul.py:30:20
	v_and_or_b32 v0, 0x90, v0, v24
	s_delay_alu instid0(VALU_DEP_2) | instskip(NEXT) | instid1(VALU_DEP_2)
	.loc	1 31 20                         ; matmul.py:31:20
	v_lshl_add_u32 v23, v81, 1, v18
	.loc	1 30 20                         ; matmul.py:30:20
	v_xad_u32 v0, v0, v22, 0
	.loc	1 31 20                         ; matmul.py:31:20
	ds_load_u16 v21, v23 offset:1408
	ds_load_u16 v20, v23 offset:1280
	;; [unrolled: 1-line block ×4, first 2 shown]
	s_wait_dscnt 0x3
	ds_load_u16_d16_hi v21, v23 offset:1472
	s_wait_dscnt 0x3
	ds_load_u16_d16_hi v20, v23 offset:1344
	;; [unrolled: 2-line block ×4, first 2 shown]
	.loc	1 30 20                         ; matmul.py:30:20
	ds_load_b128 v[22:25], v0
	ds_load_b128 v[26:29], v0 offset:512
	.loc	1 32 35                         ; matmul.py:32:35
	s_wait_dscnt 0x1
	v_wmma_f32_16x16x16_f16 v[9:16], v[18:21], v[22:25], v[9:16]
	s_wait_dscnt 0x0
	v_wmma_f32_16x16x16_f16 v[1:8], v[18:21], v[26:29], v[1:8]
.LBB0_95:                               ; %._crit_edge._crit_edge
	.loc	1 22 51                         ; matmul.py:22:51
	v_lshrrev_b32_e32 v17, 1, v17
	.loc	1 22 38 is_stmt 0               ; matmul.py:22:38
	v_or_b32_e32 v0, s18, v81
	s_delay_alu instid0(VALU_DEP_2) | instskip(SKIP_1) | instid1(VALU_DEP_2)
	.loc	1 23 38 is_stmt 1               ; matmul.py:23:38
	v_or_b32_e32 v25, s19, v17
	.loc	1 39 33                         ; matmul.py:39:33
	s_wait_kmcnt 0x0
	v_mul_lo_u32 v17, v0, s10
	.loc	1 40 33                         ; matmul.py:40:33
	v_cmp_gt_i32_e64 s2, s8, v0
	s_delay_alu instid0(VALU_DEP_3) | instskip(SKIP_1) | instid1(VALU_DEP_4)
	.loc	1 39 64                         ; matmul.py:39:64
	v_mul_lo_u32 v19, v25, s11
	.loc	1 40 58                         ; matmul.py:40:58
	v_cmp_gt_i32_e32 vcc_lo, s9, v25
	.loc	1 39 21                         ; matmul.py:39:21
	v_ashrrev_i32_e32 v18, 31, v17
	s_delay_alu instid0(VALU_DEP_3) | instskip(NEXT) | instid1(VALU_DEP_2)
	.loc	1 39 52 is_stmt 0               ; matmul.py:39:52
	v_ashrrev_i32_e32 v20, 31, v19
	.loc	1 39 21                         ; matmul.py:39:21
	v_lshlrev_b64_e32 v[21:22], 1, v[17:18]
	s_delay_alu instid0(VALU_DEP_2) | instskip(NEXT) | instid1(VALU_DEP_2)
	v_lshlrev_b64_e32 v[17:18], 1, v[19:20]
	v_add_co_u32 v27, s0, s12, v21
	s_delay_alu instid0(VALU_DEP_1)
	v_add_co_ci_u32_e64 v28, null, s13, v22, s0
	.loc	1 40 39 is_stmt 1               ; matmul.py:40:39
	s_and_b32 s0, s2, vcc_lo
	.loc	1 41 21                         ; matmul.py:41:21
	s_wait_alu depctr_sa_sdst(0)
	s_and_saveexec_b32 s1, s0
	s_cbranch_execz .LBB0_97
; %bb.96:
	.loc	1 0 21 is_stmt 0                ; matmul.py:0:21
	v_add_co_u32 v19, s0, v27, v17
	s_wait_alu depctr_va_sdst(0)
	v_add_co_ci_u32_e64 v20, null, v28, v18, s0
	v_cvt_f16_f32_e32 v9, v9
	.loc	1 41 21                         ; matmul.py:41:21
	global_store_b16 v[19:20], v9, off
.LBB0_97:
	.loc	1 0 21                          ; matmul.py:0:21
	s_wait_alu depctr_sa_sdst(0)
	s_or_b32 exec_lo, exec_lo, s1
	.loc	1 23 38 is_stmt 1               ; matmul.py:23:38
	v_or_b32_e32 v9, 1, v25
	s_delay_alu instid0(VALU_DEP_1) | instskip(SKIP_3) | instid1(VALU_DEP_1)
	.loc	1 39 64                         ; matmul.py:39:64
	v_mul_lo_u32 v19, s11, v9
	.loc	1 40 58                         ; matmul.py:40:58
	v_cmp_gt_i32_e64 s0, s9, v9
	.loc	1 40 39 is_stmt 0               ; matmul.py:40:39
	s_and_b32 s1, s0, s2
	.loc	1 39 52 is_stmt 1               ; matmul.py:39:52
	v_ashrrev_i32_e32 v20, 31, v19
	v_lshlrev_b64_e32 v[19:20], 1, v[19:20]
	.loc	1 41 21                         ; matmul.py:41:21
	s_wait_alu depctr_sa_sdst(0)
	s_and_saveexec_b32 s3, s1
	s_cbranch_execz .LBB0_99
; %bb.98:
	.loc	1 0 21 is_stmt 0                ; matmul.py:0:21
	s_delay_alu instid0(VALU_DEP_1)
	.loc	1 39 52 is_stmt 1               ; matmul.py:39:52
	v_add_co_u32 v9, s1, v27, v19
	.loc	1 35 23                         ; matmul.py:35:23
	v_cvt_f16_f32_e32 v21, v10
	.loc	1 39 52                         ; matmul.py:39:52
	s_wait_alu depctr_va_sdst(0)
	v_add_co_ci_u32_e64 v10, null, v28, v20, s1
	.loc	1 41 21                         ; matmul.py:41:21
	global_store_b16 v[9:10], v21, off
.LBB0_99:
	.loc	1 0 21 is_stmt 0                ; matmul.py:0:21
	s_wait_alu depctr_sa_sdst(0)
	s_or_b32 exec_lo, exec_lo, s3
	.loc	1 23 38 is_stmt 1               ; matmul.py:23:38
	v_or_b32_e32 v21, 2, v25
	s_delay_alu instid0(VALU_DEP_1) | instskip(SKIP_3) | instid1(VALU_DEP_1)
	.loc	1 39 64                         ; matmul.py:39:64
	v_mul_lo_u32 v9, s11, v21
	.loc	1 40 58                         ; matmul.py:40:58
	v_cmp_gt_i32_e64 s1, s9, v21
	.loc	1 40 39 is_stmt 0               ; matmul.py:40:39
	s_and_b32 s3, s1, s2
	.loc	1 39 52 is_stmt 1               ; matmul.py:39:52
	v_ashrrev_i32_e32 v10, 31, v9
	v_lshlrev_b64_e32 v[9:10], 1, v[9:10]
	.loc	1 41 21                         ; matmul.py:41:21
	s_wait_alu depctr_sa_sdst(0)
	s_and_saveexec_b32 s4, s3
	s_cbranch_execz .LBB0_101
; %bb.100:
	.loc	1 0 21 is_stmt 0                ; matmul.py:0:21
	s_delay_alu instid0(VALU_DEP_1)
	.loc	1 39 52 is_stmt 1               ; matmul.py:39:52
	v_add_co_u32 v21, s3, v27, v9
	.loc	1 35 23                         ; matmul.py:35:23
	v_cvt_f16_f32_e32 v11, v11
	.loc	1 39 52                         ; matmul.py:39:52
	s_wait_alu depctr_va_sdst(0)
	v_add_co_ci_u32_e64 v22, null, v28, v10, s3
	.loc	1 41 21                         ; matmul.py:41:21
	global_store_b16 v[21:22], v11, off
.LBB0_101:
	.loc	1 0 21 is_stmt 0                ; matmul.py:0:21
	;; [unrolled: 32-line block ×7, first 2 shown]
	s_wait_alu depctr_sa_sdst(0)
	s_or_b32 exec_lo, exec_lo, s9
	.loc	1 22 38 is_stmt 1               ; matmul.py:22:38
	v_or_b32_e32 v0, 16, v0
	s_delay_alu instid0(VALU_DEP_1) | instskip(SKIP_3) | instid1(VALU_DEP_1)
	.loc	1 39 33                         ; matmul.py:39:33
	v_mul_lo_u32 v15, s10, v0
	.loc	1 40 33                         ; matmul.py:40:33
	v_cmp_gt_i32_e64 s2, s8, v0
	.loc	1 40 39 is_stmt 0               ; matmul.py:40:39
	s_and_b32 s9, s2, vcc_lo
	.loc	1 39 21 is_stmt 1               ; matmul.py:39:21
	v_ashrrev_i32_e32 v16, 31, v15
	v_lshlrev_b64_e32 v[15:16], 1, v[15:16]
	s_delay_alu instid0(VALU_DEP_1) | instskip(SKIP_1) | instid1(VALU_DEP_2)
	v_add_co_u32 v0, s8, s12, v15
	s_wait_alu depctr_va_sdst(0)
	v_add_co_ci_u32_e64 v15, null, s13, v16, s8
	.loc	1 41 21                         ; matmul.py:41:21
	s_wait_alu depctr_sa_sdst(0)
	s_and_saveexec_b32 s8, s9
	s_cbranch_execnz .LBB0_120
; %bb.112:
	.loc	1 0 21 is_stmt 0                ; matmul.py:0:21
	s_wait_alu depctr_sa_sdst(0)
	s_or_b32 exec_lo, exec_lo, s8
	.loc	1 40 39 is_stmt 1               ; matmul.py:40:39
	s_and_b32 s8, s2, s0
	.loc	1 41 21                         ; matmul.py:41:21
	s_wait_alu depctr_sa_sdst(0)
	s_and_saveexec_b32 s0, s8
	s_cbranch_execnz .LBB0_121
.LBB0_113:
	.loc	1 0 21 is_stmt 0                ; matmul.py:0:21
	s_wait_alu depctr_sa_sdst(0)
	s_or_b32 exec_lo, exec_lo, s0
	.loc	1 40 39 is_stmt 1               ; matmul.py:40:39
	s_and_b32 s1, s2, s1
	.loc	1 41 21                         ; matmul.py:41:21
	s_wait_alu depctr_sa_sdst(0)
	s_and_saveexec_b32 s0, s1
	s_cbranch_execnz .LBB0_122
.LBB0_114:
	.loc	1 0 21 is_stmt 0                ; matmul.py:0:21
	s_wait_alu depctr_sa_sdst(0)
	s_or_b32 exec_lo, exec_lo, s0
	.loc	1 40 39 is_stmt 1               ; matmul.py:40:39
	s_and_b32 s1, s2, s3
	.loc	1 41 21                         ; matmul.py:41:21
	s_wait_alu depctr_sa_sdst(0)
	s_and_saveexec_b32 s0, s1
	s_cbranch_execnz .LBB0_123
.LBB0_115:
	.loc	1 0 21 is_stmt 0                ; matmul.py:0:21
	s_wait_alu depctr_sa_sdst(0)
	s_or_b32 exec_lo, exec_lo, s0
	.loc	1 40 39 is_stmt 1               ; matmul.py:40:39
	s_and_b32 s1, s2, s4
	.loc	1 41 21                         ; matmul.py:41:21
	s_wait_alu depctr_sa_sdst(0)
	s_and_saveexec_b32 s0, s1
	s_cbranch_execnz .LBB0_124
.LBB0_116:
	.loc	1 0 21 is_stmt 0                ; matmul.py:0:21
	s_wait_alu depctr_sa_sdst(0)
	s_or_b32 exec_lo, exec_lo, s0
	.loc	1 40 39 is_stmt 1               ; matmul.py:40:39
	s_and_b32 s1, s2, s5
	.loc	1 41 21                         ; matmul.py:41:21
	s_wait_alu depctr_sa_sdst(0)
	s_and_saveexec_b32 s0, s1
	s_cbranch_execnz .LBB0_125
.LBB0_117:
	.loc	1 0 21 is_stmt 0                ; matmul.py:0:21
	s_wait_alu depctr_sa_sdst(0)
	s_or_b32 exec_lo, exec_lo, s0
	.loc	1 40 39 is_stmt 1               ; matmul.py:40:39
	s_and_b32 s1, s2, s6
	.loc	1 41 21                         ; matmul.py:41:21
	s_wait_alu depctr_sa_sdst(0)
	s_and_saveexec_b32 s0, s1
	s_cbranch_execnz .LBB0_126
.LBB0_118:
	.loc	1 0 21 is_stmt 0                ; matmul.py:0:21
	s_wait_alu depctr_sa_sdst(0)
	s_or_b32 exec_lo, exec_lo, s0
	.loc	1 40 39 is_stmt 1               ; matmul.py:40:39
	s_and_b32 s0, s2, s7
	.loc	1 41 21                         ; matmul.py:41:21
	s_wait_alu depctr_sa_sdst(0)
	s_and_saveexec_b32 s1, s0
	s_cbranch_execnz .LBB0_127
.LBB0_119:
	.loc	1 41 4 is_stmt 0                ; matmul.py:41:4
	s_endpgm
.LBB0_120:
	.loc	1 39 52 is_stmt 1               ; matmul.py:39:52
	v_add_co_u32 v16, vcc_lo, v0, v17
	.loc	1 35 23                         ; matmul.py:35:23
	v_cvt_f16_f32_e32 v1, v1
	.loc	1 39 52                         ; matmul.py:39:52
	s_wait_alu depctr_va_vcc(0)
	v_add_co_ci_u32_e64 v17, null, v15, v18, vcc_lo
	.loc	1 41 21                         ; matmul.py:41:21
	global_store_b16 v[16:17], v1, off
	s_wait_alu depctr_sa_sdst(0)
	s_or_b32 exec_lo, exec_lo, s8
	.loc	1 40 39                         ; matmul.py:40:39
	s_and_b32 s8, s2, s0
	.loc	1 41 21                         ; matmul.py:41:21
	s_wait_alu depctr_sa_sdst(0)
	s_and_saveexec_b32 s0, s8
	s_cbranch_execz .LBB0_113
.LBB0_121:
	.loc	1 39 52                         ; matmul.py:39:52
	v_add_co_u32 v1, vcc_lo, v0, v19
	.loc	1 35 23                         ; matmul.py:35:23
	v_cvt_f16_f32_e32 v16, v2
	.loc	1 39 52                         ; matmul.py:39:52
	s_wait_alu depctr_va_vcc(0)
	v_add_co_ci_u32_e64 v2, null, v15, v20, vcc_lo
	.loc	1 41 21                         ; matmul.py:41:21
	global_store_b16 v[1:2], v16, off
	s_wait_alu depctr_sa_sdst(0)
	s_or_b32 exec_lo, exec_lo, s0
	.loc	1 40 39                         ; matmul.py:40:39
	s_and_b32 s1, s2, s1
	.loc	1 41 21                         ; matmul.py:41:21
	s_wait_alu depctr_sa_sdst(0)
	s_and_saveexec_b32 s0, s1
	s_cbranch_execz .LBB0_114
.LBB0_122:
	.loc	1 39 52                         ; matmul.py:39:52
	v_add_co_u32 v1, vcc_lo, v0, v9
	.loc	1 35 23                         ; matmul.py:35:23
	v_cvt_f16_f32_e32 v3, v3
	.loc	1 39 52                         ; matmul.py:39:52
	s_wait_alu depctr_va_vcc(0)
	v_add_co_ci_u32_e64 v2, null, v15, v10, vcc_lo
	.loc	1 41 21                         ; matmul.py:41:21
	global_store_b16 v[1:2], v3, off
	s_wait_alu depctr_sa_sdst(0)
	s_or_b32 exec_lo, exec_lo, s0
	.loc	1 40 39                         ; matmul.py:40:39
	s_and_b32 s1, s2, s3
	.loc	1 41 21                         ; matmul.py:41:21
	s_wait_alu depctr_sa_sdst(0)
	s_and_saveexec_b32 s0, s1
	s_cbranch_execz .LBB0_115
.LBB0_123:
	.loc	1 39 52                         ; matmul.py:39:52
	v_add_co_u32 v1, vcc_lo, v0, v21
	.loc	1 35 23                         ; matmul.py:35:23
	v_cvt_f16_f32_e32 v3, v4
	.loc	1 39 52                         ; matmul.py:39:52
	s_wait_alu depctr_va_vcc(0)
	v_add_co_ci_u32_e64 v2, null, v15, v22, vcc_lo
	.loc	1 41 21                         ; matmul.py:41:21
	global_store_b16 v[1:2], v3, off
	s_wait_alu depctr_sa_sdst(0)
	s_or_b32 exec_lo, exec_lo, s0
	.loc	1 40 39                         ; matmul.py:40:39
	s_and_b32 s1, s2, s4
	.loc	1 41 21                         ; matmul.py:41:21
	s_wait_alu depctr_sa_sdst(0)
	s_and_saveexec_b32 s0, s1
	s_cbranch_execz .LBB0_116
.LBB0_124:
	.loc	1 39 52                         ; matmul.py:39:52
	v_add_co_u32 v1, vcc_lo, v0, v11
	.loc	1 35 23                         ; matmul.py:35:23
	v_cvt_f16_f32_e32 v3, v5
	.loc	1 39 52                         ; matmul.py:39:52
	s_wait_alu depctr_va_vcc(0)
	v_add_co_ci_u32_e64 v2, null, v15, v12, vcc_lo
	.loc	1 41 21                         ; matmul.py:41:21
	global_store_b16 v[1:2], v3, off
	s_wait_alu depctr_sa_sdst(0)
	s_or_b32 exec_lo, exec_lo, s0
	.loc	1 40 39                         ; matmul.py:40:39
	s_and_b32 s1, s2, s5
	.loc	1 41 21                         ; matmul.py:41:21
	s_wait_alu depctr_sa_sdst(0)
	s_and_saveexec_b32 s0, s1
	s_cbranch_execz .LBB0_117
.LBB0_125:
	.loc	1 39 52                         ; matmul.py:39:52
	v_add_co_u32 v1, vcc_lo, v0, v23
	.loc	1 35 23                         ; matmul.py:35:23
	v_cvt_f16_f32_e32 v3, v6
	.loc	1 39 52                         ; matmul.py:39:52
	s_wait_alu depctr_va_vcc(0)
	v_add_co_ci_u32_e64 v2, null, v15, v24, vcc_lo
	.loc	1 41 21                         ; matmul.py:41:21
	global_store_b16 v[1:2], v3, off
	s_wait_alu depctr_sa_sdst(0)
	s_or_b32 exec_lo, exec_lo, s0
	.loc	1 40 39                         ; matmul.py:40:39
	s_and_b32 s1, s2, s6
	.loc	1 41 21                         ; matmul.py:41:21
	s_wait_alu depctr_sa_sdst(0)
	s_and_saveexec_b32 s0, s1
	s_cbranch_execz .LBB0_118
.LBB0_126:
	.loc	1 39 52                         ; matmul.py:39:52
	v_add_co_u32 v1, vcc_lo, v0, v13
	.loc	1 35 23                         ; matmul.py:35:23
	v_cvt_f16_f32_e32 v3, v7
	.loc	1 39 52                         ; matmul.py:39:52
	s_wait_alu depctr_va_vcc(0)
	v_add_co_ci_u32_e64 v2, null, v15, v14, vcc_lo
	.loc	1 41 21                         ; matmul.py:41:21
	global_store_b16 v[1:2], v3, off
	s_wait_alu depctr_sa_sdst(0)
	s_or_b32 exec_lo, exec_lo, s0
	.loc	1 40 39                         ; matmul.py:40:39
	s_and_b32 s0, s2, s7
	.loc	1 41 21                         ; matmul.py:41:21
	s_wait_alu depctr_sa_sdst(0)
	s_and_saveexec_b32 s1, s0
	s_cbranch_execz .LBB0_119
.LBB0_127:
	.loc	1 39 52                         ; matmul.py:39:52
	v_add_co_u32 v0, vcc_lo, v0, v25
	.loc	1 35 23                         ; matmul.py:35:23
	v_cvt_f16_f32_e32 v2, v8
	.loc	1 39 52                         ; matmul.py:39:52
	s_wait_alu depctr_va_vcc(0)
	v_add_co_ci_u32_e64 v1, null, v15, v26, vcc_lo
	.loc	1 41 21                         ; matmul.py:41:21
	global_store_b16 v[0:1], v2, off
	.loc	1 41 4 is_stmt 0                ; matmul.py:41:4
	s_endpgm
.LBB0_128:
	.loc	1 34 18 is_stmt 1               ; matmul.py:34:18
	s_wait_alu depctr_sa_sdst(0)
	s_lshl_b64 s[30:31], s[2:3], 1
	s_wait_alu depctr_sa_sdst(0)
	v_add_co_u32 v6, vcc_lo, v65, s30
	s_wait_alu depctr_va_vcc(0)
	v_add_co_ci_u32_e64 v7, null, s31, v66, vcc_lo
	.loc	1 31 20                         ; matmul.py:31:20
	global_load_u16 v60, v[6:7], off
	.loc	1 31 51 is_stmt 0               ; matmul.py:31:51
	s_cmp_ge_u32 s11, s15
	.loc	1 31 20                         ; matmul.py:31:20
	s_cbranch_scc1 .LBB0_51
.LBB0_129:
	.loc	1 34 18 is_stmt 1               ; matmul.py:34:18
	s_wait_alu depctr_sa_sdst(0)
	s_lshl_b64 s[30:31], s[2:3], 1
	s_wait_alu depctr_sa_sdst(0)
	v_add_co_u32 v6, vcc_lo, v67, s30
	s_wait_alu depctr_va_vcc(0)
	v_add_co_ci_u32_e64 v7, null, s31, v68, vcc_lo
	.loc	1 31 20                         ; matmul.py:31:20
	global_load_u16 v59, v[6:7], off
	v_dual_mov_b32 v61, 0 :: v_dual_mov_b32 v62, 0
	.loc	1 31 51 is_stmt 0               ; matmul.py:31:51
	s_cmp_ge_u32 s22, s15
	.loc	1 31 20                         ; matmul.py:31:20
	s_cbranch_scc1 .LBB0_52
.LBB0_130:
	.loc	1 34 18 is_stmt 1               ; matmul.py:34:18
	s_wait_alu depctr_sa_sdst(0)
	s_lshl_b64 s[30:31], s[2:3], 1
	s_wait_alu depctr_sa_sdst(0)
	v_add_co_u32 v6, vcc_lo, v69, s30
	s_wait_alu depctr_va_vcc(0)
	v_add_co_ci_u32_e64 v7, null, s31, v70, vcc_lo
	.loc	1 31 20                         ; matmul.py:31:20
	global_load_u16 v62, v[6:7], off
	.loc	1 31 51 is_stmt 0               ; matmul.py:31:51
	s_cmp_ge_u32 s23, s15
	.loc	1 31 20                         ; matmul.py:31:20
	s_cbranch_scc1 .LBB0_53
.LBB0_131:
	.loc	1 34 18 is_stmt 1               ; matmul.py:34:18
	s_wait_alu depctr_sa_sdst(0)
	s_lshl_b64 s[30:31], s[2:3], 1
	s_wait_alu depctr_sa_sdst(0)
	v_add_co_u32 v6, vcc_lo, v71, s30
	s_wait_alu depctr_va_vcc(0)
	v_add_co_ci_u32_e64 v7, null, s31, v72, vcc_lo
	.loc	1 31 20                         ; matmul.py:31:20
	global_load_u16 v61, v[6:7], off
	v_dual_mov_b32 v63, 0 :: v_dual_mov_b32 v64, 0
	.loc	1 31 51 is_stmt 0               ; matmul.py:31:51
	s_cmp_ge_u32 s24, s15
	.loc	1 31 20                         ; matmul.py:31:20
	s_cbranch_scc1 .LBB0_54
.LBB0_132:
	.loc	1 34 18 is_stmt 1               ; matmul.py:34:18
	s_wait_alu depctr_sa_sdst(0)
	s_lshl_b64 s[30:31], s[2:3], 1
	s_wait_alu depctr_sa_sdst(0)
	v_add_co_u32 v6, vcc_lo, v73, s30
	s_wait_alu depctr_va_vcc(0)
	v_add_co_ci_u32_e64 v7, null, s31, v74, vcc_lo
	.loc	1 31 20                         ; matmul.py:31:20
	global_load_u16 v64, v[6:7], off
	.loc	1 31 51 is_stmt 0               ; matmul.py:31:51
	s_cmp_ge_u32 s26, s15
	.loc	1 31 20                         ; matmul.py:31:20
	s_cbranch_scc1 .LBB0_55
.LBB0_133:
	.loc	1 34 18 is_stmt 1               ; matmul.py:34:18
	s_wait_alu depctr_sa_sdst(0)
	s_lshl_b64 s[30:31], s[2:3], 1
	s_wait_alu depctr_sa_sdst(0)
	v_add_co_u32 v6, vcc_lo, v75, s30
	s_wait_alu depctr_va_vcc(0)
	v_add_co_ci_u32_e64 v7, null, s31, v76, vcc_lo
	.loc	1 31 20                         ; matmul.py:31:20
	global_load_u16 v63, v[6:7], off
	v_dual_mov_b32 v65, 0 :: v_dual_mov_b32 v66, 0
	.loc	1 31 51 is_stmt 0               ; matmul.py:31:51
	s_cmp_ge_u32 s27, s15
	.loc	1 31 20                         ; matmul.py:31:20
	s_cbranch_scc1 .LBB0_56
.LBB0_134:
	.loc	1 34 18 is_stmt 1               ; matmul.py:34:18
	s_wait_alu depctr_sa_sdst(0)
	s_lshl_b64 s[30:31], s[2:3], 1
	s_wait_alu depctr_sa_sdst(0)
	v_add_co_u32 v6, vcc_lo, v77, s30
	s_wait_alu depctr_va_vcc(0)
	v_add_co_ci_u32_e64 v7, null, s31, v78, vcc_lo
	.loc	1 31 20                         ; matmul.py:31:20
	global_load_u16 v66, v[6:7], off
	.loc	1 31 51 is_stmt 0               ; matmul.py:31:51
	s_cmp_ge_u32 s28, s15
	.loc	1 31 20                         ; matmul.py:31:20
	s_cbranch_scc0 .LBB0_57
	s_branch .LBB0_58
.Ltmp18:
	.section	.rodata,"a",@progbits
	.p2align	6, 0x0
	.amdhsa_kernel matmul_kernel
		.amdhsa_group_segment_fixed_size 0
		.amdhsa_private_segment_fixed_size 0
		.amdhsa_kernarg_size 80
		.amdhsa_user_sgpr_count 2
		.amdhsa_user_sgpr_dispatch_ptr 0
		.amdhsa_user_sgpr_queue_ptr 0
		.amdhsa_user_sgpr_kernarg_segment_ptr 1
		.amdhsa_user_sgpr_dispatch_id 0
		.amdhsa_user_sgpr_private_segment_size 0
		.amdhsa_wavefront_size32 1
		.amdhsa_uses_dynamic_stack 0
		.amdhsa_enable_private_segment 0
		.amdhsa_system_sgpr_workgroup_id_x 1
		.amdhsa_system_sgpr_workgroup_id_y 1
		.amdhsa_system_sgpr_workgroup_id_z 1
		.amdhsa_system_sgpr_workgroup_info 0
		.amdhsa_system_vgpr_workitem_id 0
		.amdhsa_next_free_vgpr 93
		.amdhsa_next_free_sgpr 32
		.amdhsa_reserve_vcc 1
		.amdhsa_float_round_mode_32 0
		.amdhsa_float_round_mode_16_64 0
		.amdhsa_float_denorm_mode_32 3
		.amdhsa_float_denorm_mode_16_64 3
		.amdhsa_fp16_overflow 0
		.amdhsa_workgroup_processor_mode 1
		.amdhsa_memory_ordered 1
		.amdhsa_forward_progress 1
		.amdhsa_inst_pref_size 59
		.amdhsa_round_robin_scheduling 0
		.amdhsa_exception_fp_ieee_invalid_op 0
		.amdhsa_exception_fp_denorm_src 0
		.amdhsa_exception_fp_ieee_div_zero 0
		.amdhsa_exception_fp_ieee_overflow 0
		.amdhsa_exception_fp_ieee_underflow 0
		.amdhsa_exception_fp_ieee_inexact 0
		.amdhsa_exception_int_div_zero 0
	.end_amdhsa_kernel
	.text
.Lfunc_end0:
	.size	matmul_kernel, .Lfunc_end0-matmul_kernel
	.cfi_endproc
                                        ; -- End function
	.set matmul_kernel.num_vgpr, 93
	.set matmul_kernel.num_agpr, 0
	.set matmul_kernel.numbered_sgpr, 32
	.set matmul_kernel.num_named_barrier, 0
	.set matmul_kernel.private_seg_size, 0
	.set matmul_kernel.uses_vcc, 1
	.set matmul_kernel.uses_flat_scratch, 0
	.set matmul_kernel.has_dyn_sized_stack, 0
	.set matmul_kernel.has_recursion, 0
	.set matmul_kernel.has_indirect_call, 0
	.section	.AMDGPU.csdata,"",@progbits
; Kernel info:
; codeLenInByte = 7504
; TotalNumSgprs: 34
; NumVgprs: 93
; ScratchSize: 0
; MemoryBound: 0
; FloatMode: 240
; IeeeMode: 1
; LDSByteSize: 0 bytes/workgroup (compile time only)
; SGPRBlocks: 0
; VGPRBlocks: 11
; NumSGPRsForWavesPerEU: 34
; NumVGPRsForWavesPerEU: 93
; Occupancy: 16
; WaveLimiterHint : 0
; COMPUTE_PGM_RSRC2:SCRATCH_EN: 0
; COMPUTE_PGM_RSRC2:USER_SGPR: 2
; COMPUTE_PGM_RSRC2:TRAP_HANDLER: 0
; COMPUTE_PGM_RSRC2:TGID_X_EN: 1
; COMPUTE_PGM_RSRC2:TGID_Y_EN: 1
; COMPUTE_PGM_RSRC2:TGID_Z_EN: 1
; COMPUTE_PGM_RSRC2:TIDIG_COMP_CNT: 0
	.text
	.p2alignl 7, 3214868480
	.fill 96, 4, 3214868480
	.section	.AMDGPU.gpr_maximums,"",@progbits
	.set amdgpu.max_num_vgpr, 0
	.set amdgpu.max_num_agpr, 0
	.set amdgpu.max_num_sgpr, 0
	.set amdgpu.max_num_named_barrier, 0
	.text
	.section	.debug_abbrev,"",@progbits
	.byte	1                               ; Abbreviation Code
	.byte	17                              ; DW_TAG_compile_unit
	.byte	1                               ; DW_CHILDREN_yes
	.byte	37                              ; DW_AT_producer
	.byte	14                              ; DW_FORM_strp
	.byte	19                              ; DW_AT_language
	.byte	5                               ; DW_FORM_data2
	.byte	3                               ; DW_AT_name
	.byte	14                              ; DW_FORM_strp
	.byte	16                              ; DW_AT_stmt_list
	.byte	23                              ; DW_FORM_sec_offset
	.byte	27                              ; DW_AT_comp_dir
	.byte	14                              ; DW_FORM_strp
	.byte	17                              ; DW_AT_low_pc
	.byte	1                               ; DW_FORM_addr
	.byte	18                              ; DW_AT_high_pc
	.byte	6                               ; DW_FORM_data4
	.byte	0                               ; EOM(1)
	.byte	0                               ; EOM(2)
	.byte	2                               ; Abbreviation Code
	.byte	46                              ; DW_TAG_subprogram
	.byte	0                               ; DW_CHILDREN_no
	.byte	3                               ; DW_AT_name
	.byte	14                              ; DW_FORM_strp
	.byte	32                              ; DW_AT_inline
	.byte	11                              ; DW_FORM_data1
	.byte	0                               ; EOM(1)
	.byte	0                               ; EOM(2)
	.byte	3                               ; Abbreviation Code
	.byte	46                              ; DW_TAG_subprogram
	.byte	1                               ; DW_CHILDREN_yes
	.byte	17                              ; DW_AT_low_pc
	.byte	1                               ; DW_FORM_addr
	.byte	18                              ; DW_AT_high_pc
	.byte	6                               ; DW_FORM_data4
	.byte	49                              ; DW_AT_abstract_origin
	.byte	19                              ; DW_FORM_ref4
	.byte	0                               ; EOM(1)
	.byte	0                               ; EOM(2)
	.byte	4                               ; Abbreviation Code
	.byte	29                              ; DW_TAG_inlined_subroutine
	.byte	0                               ; DW_CHILDREN_no
	.byte	49                              ; DW_AT_abstract_origin
	.byte	19                              ; DW_FORM_ref4
	.byte	85                              ; DW_AT_ranges
	.byte	23                              ; DW_FORM_sec_offset
	.byte	88                              ; DW_AT_call_file
	.byte	11                              ; DW_FORM_data1
	.byte	89                              ; DW_AT_call_line
	.byte	11                              ; DW_FORM_data1
	.byte	87                              ; DW_AT_call_column
	.byte	11                              ; DW_FORM_data1
	.byte	0                               ; EOM(1)
	.byte	0                               ; EOM(2)
	;; [unrolled: 1-line block ×3, first 2 shown]
	.section	.debug_info,"",@progbits
.Lcu_begin0:
	.long	.Ldebug_info_end0-.Ldebug_info_start0 ; Length of Unit
.Ldebug_info_start0:
	.short	4                               ; DWARF version number
	.long	.debug_abbrev                   ; Offset Into Abbrev. Section
	.byte	8                               ; Address Size (in bytes)
	.byte	1                               ; Abbrev [1] 0xb:0x5c DW_TAG_compile_unit
	.long	.Linfo_string0                  ; DW_AT_producer
	.short	2                               ; DW_AT_language
	.long	.Linfo_string1                  ; DW_AT_name
	.long	.Lline_table_start0             ; DW_AT_stmt_list
	.long	.Linfo_string2                  ; DW_AT_comp_dir
	.quad	.Lfunc_begin0                   ; DW_AT_low_pc
	.long	.Lfunc_end0-.Lfunc_begin0       ; DW_AT_high_pc
	.byte	2                               ; Abbrev [2] 0x2a:0x6 DW_TAG_subprogram
	.long	.Linfo_string3                  ; DW_AT_name
	.byte	1                               ; DW_AT_inline
	.byte	3                               ; Abbrev [3] 0x30:0x36 DW_TAG_subprogram
	.quad	.Lfunc_begin0                   ; DW_AT_low_pc
	.long	.Lfunc_end0-.Lfunc_begin0       ; DW_AT_high_pc
	.long	42                              ; DW_AT_abstract_origin
	.byte	4                               ; Abbrev [4] 0x41:0xc DW_TAG_inlined_subroutine
	.long	42                              ; DW_AT_abstract_origin
	.long	.Ldebug_ranges0                 ; DW_AT_ranges
	.byte	1                               ; DW_AT_call_file
	.byte	14                              ; DW_AT_call_line
	.byte	27                              ; DW_AT_call_column
	.byte	4                               ; Abbrev [4] 0x4d:0xc DW_TAG_inlined_subroutine
	.long	42                              ; DW_AT_abstract_origin
	.long	.Ldebug_ranges1                 ; DW_AT_ranges
	.byte	1                               ; DW_AT_call_file
	.byte	13                              ; DW_AT_call_line
	.byte	27                              ; DW_AT_call_column
	;; [unrolled: 6-line block ×3, first 2 shown]
	.byte	0                               ; End Of Children Mark
	.byte	0                               ; End Of Children Mark
.Ldebug_info_end0:
	.section	.debug_ranges,"",@progbits
.Ldebug_ranges0:
	.quad	.Ltmp1-.Lfunc_begin0
	.quad	.Ltmp2-.Lfunc_begin0
	;; [unrolled: 1-line block ×10, first 2 shown]
	.quad	0
	.quad	0
.Ldebug_ranges1:
	.quad	.Ltmp2-.Lfunc_begin0
	.quad	.Ltmp3-.Lfunc_begin0
	;; [unrolled: 1-line block ×10, first 2 shown]
	.quad	0
	.quad	0
.Ldebug_ranges2:
	.quad	.Ltmp12-.Lfunc_begin0
	.quad	.Ltmp13-.Lfunc_begin0
	.quad	.Ltmp14-.Lfunc_begin0
	.quad	.Ltmp15-.Lfunc_begin0
	.quad	.Ltmp16-.Lfunc_begin0
	.quad	.Ltmp17-.Lfunc_begin0
	.quad	0
	.quad	0
	.section	.debug_str,"MS",@progbits,1
.Linfo_string0:
	.asciz	"triton"                        ; string offset=0
.Linfo_string1:
	.asciz	"matmul.py"                     ; string offset=7
.Linfo_string2:
	.asciz	"/root/src/amdgpu-assembly/repos/triton-lang__triton-aot" ; string offset=17
.Linfo_string3:
	.asciz	"matmul_kernel"                 ; string offset=73
	.section	".note.GNU-stack","",@progbits
	.amdgpu_metadata
---
amdhsa.kernels:
  - .args:
      - .address_space:  global
        .offset:         0
        .size:           8
        .value_kind:     global_buffer
      - .address_space:  global
        .offset:         8
        .size:           8
        .value_kind:     global_buffer
      - .address_space:  global
        .offset:         16
        .size:           8
        .value_kind:     global_buffer
      - .offset:         24
        .size:           4
        .value_kind:     by_value
      - .offset:         28
        .size:           4
        .value_kind:     by_value
      - .offset:         32
        .size:           4
        .value_kind:     by_value
      - .offset:         36
        .size:           4
        .value_kind:     by_value
      - .offset:         40
        .size:           4
        .value_kind:     by_value
      - .offset:         44
        .size:           4
        .value_kind:     by_value
      - .offset:         48
        .size:           4
        .value_kind:     by_value
      - .offset:         52
        .size:           4
        .value_kind:     by_value
      - .offset:         56
        .size:           4
        .value_kind:     by_value
      - .address_space:  global
        .offset:         64
        .size:           8
        .value_kind:     global_buffer
      - .address_space:  global
        .offset:         72
        .size:           8
        .value_kind:     global_buffer
    .group_segment_fixed_size: 0
    .kernarg_segment_align: 8
    .kernarg_segment_size: 80
    .max_flat_workgroup_size: 64
    .name:           matmul_kernel
    .private_segment_fixed_size: 0
    .sgpr_count:     34
    .sgpr_spill_count: 0
    .symbol:         matmul_kernel.kd
    .uniform_work_group_size: 1
    .uses_dynamic_stack: false
    .vgpr_count:     93
    .vgpr_spill_count: 0
    .wavefront_size: 32
    .workgroup_processor_mode: 1
amdhsa.target:   amdgcn-amd-amdhsa--gfx1201
amdhsa.version:
  - 1
  - 2
...

	.end_amdgpu_metadata
	.section	.debug_line,"",@progbits
.Lline_table_start0:
